;; amdgpu-corpus repo=ROCm/rocFFT kind=compiled arch=gfx1030 opt=O3
	.text
	.amdgcn_target "amdgcn-amd-amdhsa--gfx1030"
	.amdhsa_code_object_version 6
	.protected	bluestein_single_back_len1190_dim1_half_op_CI_CI ; -- Begin function bluestein_single_back_len1190_dim1_half_op_CI_CI
	.globl	bluestein_single_back_len1190_dim1_half_op_CI_CI
	.p2align	8
	.type	bluestein_single_back_len1190_dim1_half_op_CI_CI,@function
bluestein_single_back_len1190_dim1_half_op_CI_CI: ; @bluestein_single_back_len1190_dim1_half_op_CI_CI
; %bb.0:
	s_load_dwordx4 s[0:3], s[4:5], 0x28
	v_mul_u32_u24_e32 v1, 0x304, v0
	v_lshrrev_b32_e32 v1, 16, v1
	v_mad_u64_u32 v[20:21], null, s6, 3, v[1:2]
	v_mov_b32_e32 v21, 0
                                        ; kill: def $vgpr2 killed $sgpr0 killed $exec
	s_waitcnt lgkmcnt(0)
	v_cmp_gt_u64_e32 vcc_lo, s[0:1], v[20:21]
	s_and_saveexec_b32 s0, vcc_lo
	s_cbranch_execz .LBB0_23
; %bb.1:
	v_mul_hi_u32 v2, 0xaaaaaaab, v20
	s_clause 0x1
	s_load_dwordx2 s[8:9], s[4:5], 0x0
	s_load_dwordx2 s[10:11], s[4:5], 0x38
	v_mul_lo_u16 v1, 0x55, v1
	v_sub_nc_u16 v0, v0, v1
	v_lshrrev_b32_e32 v2, 1, v2
	v_and_b32_e32 v42, 0xffff, v0
	v_lshl_add_u32 v2, v2, 1, v2
	v_cmp_gt_u16_e32 vcc_lo, 0x46, v0
	v_lshlrev_b32_e32 v41, 2, v42
	v_sub_nc_u32_e32 v1, v20, v2
	v_mul_u32_u24_e32 v29, 0x4a6, v1
	v_lshlrev_b32_e32 v43, 2, v29
	s_and_saveexec_b32 s1, vcc_lo
	s_cbranch_execz .LBB0_3
; %bb.2:
	s_load_dwordx2 s[6:7], s[4:5], 0x18
	s_waitcnt lgkmcnt(0)
	s_load_dwordx4 s[12:15], s[6:7], 0x0
	s_waitcnt lgkmcnt(0)
	v_mad_u64_u32 v[0:1], null, s14, v20, 0
	v_mad_u64_u32 v[2:3], null, s12, v42, 0
	s_mul_i32 s6, s13, 0x118
	s_mul_hi_u32 s7, s12, 0x118
	v_mad_u64_u32 v[4:5], null, s15, v20, v[1:2]
	v_mad_u64_u32 v[5:6], null, s13, v42, v[3:4]
	v_mov_b32_e32 v1, v4
	v_lshlrev_b64 v[0:1], 2, v[0:1]
	v_mov_b32_e32 v3, v5
	v_add_co_u32 v0, s0, s2, v0
	v_lshlrev_b64 v[2:3], 2, v[2:3]
	v_add_co_ci_u32_e64 v1, s0, s3, v1, s0
	s_mul_i32 s2, s12, 0x118
	s_add_i32 s3, s7, s6
	v_add_co_u32 v0, s0, v0, v2
	v_add_co_ci_u32_e64 v1, s0, v1, v3, s0
	v_add_co_u32 v2, s0, v0, s2
	v_add_co_ci_u32_e64 v3, s0, s3, v1, s0
	v_add_co_u32 v6, s0, s8, v41
	v_add_co_ci_u32_e64 v7, null, s9, 0, s0
	s_clause 0x1
	global_load_dword v8, v[0:1], off
	global_load_dword v9, v[2:3], off
	v_add_co_u32 v0, s0, v2, s2
	v_add_co_ci_u32_e64 v1, s0, s3, v3, s0
	s_clause 0x7
	global_load_dword v10, v41, s[8:9]
	global_load_dword v11, v41, s[8:9] offset:280
	global_load_dword v12, v41, s[8:9] offset:560
	;; [unrolled: 1-line block ×7, first 2 shown]
	v_add_co_u32 v2, s0, v0, s2
	v_add_co_ci_u32_e64 v3, s0, s3, v1, s0
	s_clause 0x1
	global_load_dword v18, v[0:1], off
	global_load_dword v19, v[2:3], off
	v_add_co_u32 v0, s0, v2, s2
	v_add_co_ci_u32_e64 v1, s0, s3, v3, s0
	v_add_co_u32 v2, s0, v0, s2
	v_add_co_ci_u32_e64 v3, s0, s3, v1, s0
	global_load_dword v21, v[0:1], off
	v_add_co_u32 v0, s0, v2, s2
	v_add_co_ci_u32_e64 v1, s0, s3, v3, s0
	global_load_dword v22, v[2:3], off
	;; [unrolled: 3-line block ×3, first 2 shown]
	v_add_co_u32 v0, s0, v2, s2
	v_add_co_ci_u32_e64 v1, s0, s3, v3, s0
	v_add_co_u32 v4, s0, 0x800, v6
	v_add_co_ci_u32_e64 v5, s0, 0, v7, s0
	global_load_dword v24, v[2:3], off
	global_load_dword v25, v[0:1], off
	v_add_co_u32 v0, s0, v0, s2
	v_add_co_ci_u32_e64 v1, s0, s3, v1, s0
	s_clause 0x6
	global_load_dword v26, v[4:5], off offset:192
	global_load_dword v27, v[4:5], off offset:472
	;; [unrolled: 1-line block ×7, first 2 shown]
	v_add_co_u32 v2, s0, v0, s2
	v_add_co_ci_u32_e64 v3, s0, s3, v1, s0
	global_load_dword v34, v[0:1], off
	v_add_co_u32 v0, s0, v2, s2
	v_add_co_ci_u32_e64 v1, s0, s3, v3, s0
	global_load_dword v35, v[2:3], off
	v_add_co_u32 v2, s0, v0, s2
	v_add_co_ci_u32_e64 v3, s0, s3, v1, s0
	global_load_dword v36, v[0:1], off
	v_add_co_u32 v0, s0, v2, s2
	v_add_co_ci_u32_e64 v1, s0, s3, v3, s0
	global_load_dword v37, v[2:3], off
	v_add_co_u32 v2, s0, v0, s2
	v_add_co_ci_u32_e64 v3, s0, s3, v1, s0
	global_load_dword v38, v[0:1], off
	v_add_co_u32 v0, s0, v2, s2
	v_add_co_ci_u32_e64 v1, s0, s3, v3, s0
	global_load_dword v39, v[2:3], off
	v_add_co_u32 v2, s0, v0, s2
	v_add_co_ci_u32_e64 v3, s0, s3, v1, s0
	v_add_co_u32 v4, s0, 0x1000, v6
	v_add_co_ci_u32_e64 v5, s0, 0, v7, s0
	global_load_dword v0, v[0:1], off
	global_load_dword v1, v[2:3], off
	s_clause 0x1
	global_load_dword v2, v[4:5], off offset:104
	global_load_dword v3, v[4:5], off offset:384
	v_lshl_add_u32 v5, v42, 2, v43
	v_add_nc_u32_e32 v4, v43, v41
	v_add_nc_u32_e32 v6, 0x200, v4
	;; [unrolled: 1-line block ×6, first 2 shown]
	s_waitcnt vmcnt(33)
	v_lshrrev_b32_e32 v7, 16, v8
	s_waitcnt vmcnt(31)
	v_mul_f16_sdwa v45, v10, v8 dst_sel:DWORD dst_unused:UNUSED_PAD src0_sel:WORD_1 src1_sel:DWORD
	v_lshrrev_b32_e32 v48, 16, v9
	v_mul_f16_sdwa v47, v10, v7 dst_sel:DWORD dst_unused:UNUSED_PAD src0_sel:WORD_1 src1_sel:DWORD
	v_fma_f16 v7, v10, v7, -v45
	s_waitcnt vmcnt(30)
	v_mul_f16_sdwa v45, v11, v9 dst_sel:DWORD dst_unused:UNUSED_PAD src0_sel:WORD_1 src1_sel:DWORD
	v_fmac_f16_e32 v47, v10, v8
	v_mul_f16_sdwa v8, v11, v48 dst_sel:DWORD dst_unused:UNUSED_PAD src0_sel:WORD_1 src1_sel:DWORD
	s_waitcnt vmcnt(23)
	v_lshrrev_b32_e32 v10, 16, v18
	v_mul_f16_sdwa v50, v12, v18 dst_sel:DWORD dst_unused:UNUSED_PAD src0_sel:WORD_1 src1_sel:DWORD
	v_fma_f16 v45, v11, v48, -v45
	v_pack_b32_f16 v7, v47, v7
	v_fmac_f16_e32 v8, v11, v9
	v_mul_f16_sdwa v9, v12, v10 dst_sel:DWORD dst_unused:UNUSED_PAD src0_sel:WORD_1 src1_sel:DWORD
	s_waitcnt vmcnt(22)
	v_lshrrev_b32_e32 v11, 16, v19
	v_fma_f16 v10, v12, v10, -v50
	v_mul_f16_sdwa v47, v13, v19 dst_sel:DWORD dst_unused:UNUSED_PAD src0_sel:WORD_1 src1_sel:DWORD
	ds_write_b32 v5, v7
	v_pack_b32_f16 v5, v8, v45
	v_fmac_f16_e32 v9, v12, v18
	v_mul_f16_sdwa v7, v13, v11 dst_sel:DWORD dst_unused:UNUSED_PAD src0_sel:WORD_1 src1_sel:DWORD
	s_waitcnt vmcnt(21)
	v_lshrrev_b32_e32 v8, 16, v21
	v_mul_f16_sdwa v12, v14, v21 dst_sel:DWORD dst_unused:UNUSED_PAD src0_sel:WORD_1 src1_sel:DWORD
	v_fma_f16 v11, v13, v11, -v47
	v_pack_b32_f16 v9, v9, v10
	v_fmac_f16_e32 v7, v13, v19
	v_mul_f16_sdwa v10, v14, v8 dst_sel:DWORD dst_unused:UNUSED_PAD src0_sel:WORD_1 src1_sel:DWORD
	v_fma_f16 v8, v14, v8, -v12
	s_waitcnt vmcnt(20)
	v_lshrrev_b32_e32 v12, 16, v22
	v_mul_f16_sdwa v13, v15, v22 dst_sel:DWORD dst_unused:UNUSED_PAD src0_sel:WORD_1 src1_sel:DWORD
	ds_write2_b32 v4, v5, v9 offset0:70 offset1:140
	v_pack_b32_f16 v5, v7, v11
	v_fmac_f16_e32 v10, v14, v21
	v_mul_f16_sdwa v7, v15, v12 dst_sel:DWORD dst_unused:UNUSED_PAD src0_sel:WORD_1 src1_sel:DWORD
	s_waitcnt vmcnt(19)
	v_lshrrev_b32_e32 v9, 16, v23
	v_mul_f16_sdwa v11, v16, v23 dst_sel:DWORD dst_unused:UNUSED_PAD src0_sel:WORD_1 src1_sel:DWORD
	v_fma_f16 v12, v15, v12, -v13
	v_pack_b32_f16 v8, v10, v8
	v_fmac_f16_e32 v7, v15, v22
	v_mul_f16_sdwa v10, v16, v9 dst_sel:DWORD dst_unused:UNUSED_PAD src0_sel:WORD_1 src1_sel:DWORD
	v_fma_f16 v9, v16, v9, -v11
	s_waitcnt vmcnt(18)
	v_lshrrev_b32_e32 v11, 16, v24
	v_mul_f16_sdwa v13, v17, v24 dst_sel:DWORD dst_unused:UNUSED_PAD src0_sel:WORD_1 src1_sel:DWORD
	ds_write2_b32 v6, v5, v8 offset0:82 offset1:152
	v_pack_b32_f16 v5, v7, v12
	v_fmac_f16_e32 v10, v16, v23
	v_mul_f16_sdwa v6, v17, v11 dst_sel:DWORD dst_unused:UNUSED_PAD src0_sel:WORD_1 src1_sel:DWORD
	s_waitcnt vmcnt(17)
	v_lshrrev_b32_e32 v7, 16, v25
	s_waitcnt vmcnt(16)
	v_mul_f16_sdwa v8, v26, v25 dst_sel:DWORD dst_unused:UNUSED_PAD src0_sel:WORD_1 src1_sel:DWORD
	v_fma_f16 v11, v17, v11, -v13
	v_pack_b32_f16 v9, v10, v9
	v_fmac_f16_e32 v6, v17, v24
	v_mul_f16_sdwa v10, v26, v7 dst_sel:DWORD dst_unused:UNUSED_PAD src0_sel:WORD_1 src1_sel:DWORD
	v_fma_f16 v7, v26, v7, -v8
	s_waitcnt vmcnt(9)
	v_lshrrev_b32_e32 v8, 16, v34
	v_mul_f16_sdwa v12, v27, v34 dst_sel:DWORD dst_unused:UNUSED_PAD src0_sel:WORD_1 src1_sel:DWORD
	ds_write2_b32 v40, v5, v9 offset0:94 offset1:164
	v_pack_b32_f16 v5, v6, v11
	v_fmac_f16_e32 v10, v26, v25
	v_mul_f16_sdwa v6, v27, v8 dst_sel:DWORD dst_unused:UNUSED_PAD src0_sel:WORD_1 src1_sel:DWORD
	s_waitcnt vmcnt(8)
	v_lshrrev_b32_e32 v9, 16, v35
	v_fma_f16 v8, v27, v8, -v12
	v_mul_f16_sdwa v11, v28, v35 dst_sel:DWORD dst_unused:UNUSED_PAD src0_sel:WORD_1 src1_sel:DWORD
	v_pack_b32_f16 v7, v10, v7
	v_fmac_f16_e32 v6, v27, v34
	v_mul_f16_sdwa v10, v28, v9 dst_sel:DWORD dst_unused:UNUSED_PAD src0_sel:WORD_1 src1_sel:DWORD
	s_waitcnt vmcnt(7)
	v_lshrrev_b32_e32 v12, 16, v36
	v_mul_f16_sdwa v13, v30, v36 dst_sel:DWORD dst_unused:UNUSED_PAD src0_sel:WORD_1 src1_sel:DWORD
	v_fma_f16 v9, v28, v9, -v11
	v_pack_b32_f16 v6, v6, v8
	v_fmac_f16_e32 v10, v28, v35
	v_mul_f16_sdwa v8, v30, v12 dst_sel:DWORD dst_unused:UNUSED_PAD src0_sel:WORD_1 src1_sel:DWORD
	v_fma_f16 v11, v30, v12, -v13
	s_waitcnt vmcnt(6)
	v_lshrrev_b32_e32 v12, 16, v37
	v_mul_f16_sdwa v13, v31, v37 dst_sel:DWORD dst_unused:UNUSED_PAD src0_sel:WORD_1 src1_sel:DWORD
	v_pack_b32_f16 v9, v10, v9
	v_fmac_f16_e32 v8, v30, v36
	s_waitcnt vmcnt(5)
	v_lshrrev_b32_e32 v10, 16, v38
	v_mul_f16_sdwa v14, v31, v12 dst_sel:DWORD dst_unused:UNUSED_PAD src0_sel:WORD_1 src1_sel:DWORD
	v_fma_f16 v12, v31, v12, -v13
	v_mul_f16_sdwa v13, v32, v38 dst_sel:DWORD dst_unused:UNUSED_PAD src0_sel:WORD_1 src1_sel:DWORD
	s_waitcnt vmcnt(4)
	v_lshrrev_b32_e32 v15, 16, v39
	v_pack_b32_f16 v8, v8, v11
	v_mul_f16_sdwa v11, v32, v10 dst_sel:DWORD dst_unused:UNUSED_PAD src0_sel:WORD_1 src1_sel:DWORD
	s_waitcnt vmcnt(3)
	v_lshrrev_b32_e32 v16, 16, v0
	v_fma_f16 v10, v32, v10, -v13
	v_mul_f16_sdwa v13, v33, v39 dst_sel:DWORD dst_unused:UNUSED_PAD src0_sel:WORD_1 src1_sel:DWORD
	s_waitcnt vmcnt(2)
	v_lshrrev_b32_e32 v18, 16, v1
	v_mul_f16_sdwa v17, v33, v15 dst_sel:DWORD dst_unused:UNUSED_PAD src0_sel:WORD_1 src1_sel:DWORD
	s_waitcnt vmcnt(1)
	v_mul_f16_sdwa v19, v2, v16 dst_sel:DWORD dst_unused:UNUSED_PAD src0_sel:WORD_1 src1_sel:DWORD
	s_waitcnt vmcnt(0)
	v_mul_f16_sdwa v21, v3, v1 dst_sel:DWORD dst_unused:UNUSED_PAD src0_sel:WORD_1 src1_sel:DWORD
	v_fma_f16 v13, v33, v15, -v13
	v_mul_f16_sdwa v15, v2, v0 dst_sel:DWORD dst_unused:UNUSED_PAD src0_sel:WORD_1 src1_sel:DWORD
	v_mul_f16_sdwa v22, v3, v18 dst_sel:DWORD dst_unused:UNUSED_PAD src0_sel:WORD_1 src1_sel:DWORD
	v_fmac_f16_e32 v14, v31, v37
	v_fmac_f16_e32 v11, v32, v38
	;; [unrolled: 1-line block ×3, first 2 shown]
	v_fma_f16 v15, v2, v16, -v15
	v_fmac_f16_e32 v19, v2, v0
	v_fma_f16 v0, v3, v18, -v21
	v_fmac_f16_e32 v22, v3, v1
	v_pack_b32_f16 v1, v14, v12
	v_pack_b32_f16 v2, v11, v10
	;; [unrolled: 1-line block ×5, first 2 shown]
	v_add_nc_u32_e32 v4, 0x1000, v4
	ds_write2_b32 v44, v5, v7 offset0:106 offset1:176
	ds_write2_b32 v46, v6, v9 offset0:118 offset1:188
	;; [unrolled: 1-line block ×5, first 2 shown]
.LBB0_3:
	s_or_b32 exec_lo, exec_lo, s1
	s_clause 0x1
	s_load_dwordx2 s[0:1], s[4:5], 0x20
	s_load_dwordx2 s[2:3], s[4:5], 0x8
	v_mov_b32_e32 v4, 0
	s_waitcnt lgkmcnt(0)
	s_barrier
	buffer_gl0_inv
                                        ; implicit-def: $vgpr16
                                        ; implicit-def: $vgpr1
                                        ; implicit-def: $vgpr3
                                        ; implicit-def: $vgpr7
                                        ; implicit-def: $vgpr9
                                        ; implicit-def: $vgpr11
                                        ; implicit-def: $vgpr13
                                        ; implicit-def: $vgpr15
                                        ; implicit-def: $vgpr110
                                        ; kill: def $vgpr0 killed $sgpr0 killed $exec
	s_and_saveexec_b32 s4, vcc_lo
	s_cbranch_execz .LBB0_5
; %bb.4:
	v_lshl_add_u32 v16, v29, 2, v41
	ds_read2_b32 v[4:5], v16 offset1:70
	ds_read2_b32 v[14:15], v16 offset0:140 offset1:210
	v_add_nc_u32_e32 v0, 0x400, v16
	v_add_nc_u32_e32 v1, 0x800, v16
	;; [unrolled: 1-line block ×5, first 2 shown]
	ds_read2_b32 v[12:13], v0 offset0:24 offset1:94
	ds_read2_b32 v[10:11], v0 offset0:164 offset1:234
	;; [unrolled: 1-line block ×6, first 2 shown]
	ds_read_b32 v16, v16 offset:4480
	s_waitcnt lgkmcnt(7)
	v_alignbit_b32 v110, v14, v14, 16
.LBB0_5:
	s_or_b32 exec_lo, exec_lo, s4
	s_waitcnt lgkmcnt(0)
	v_pk_add_f16 v14, v5, v16 neg_lo:[0,1] neg_hi:[0,1]
	v_mov_b32_e32 v100, 0xb5c8
	v_pk_add_f16 v18, v16, v5
	v_mov_b32_e32 v106, 0xbb29
	v_pk_add_f16 v17, v1, v110 op_sel:[1,0] op_sel_hi:[0,1]
	v_pk_add_f16 v19, v110, v1 op_sel:[1,0] op_sel_hi:[0,1] neg_lo:[0,1] neg_hi:[0,1]
	v_mul_f16_sdwa v32, v14, v100 dst_sel:DWORD dst_unused:UNUSED_PAD src0_sel:WORD_1 src1_sel:DWORD
	v_mov_b32_e32 v102, 0xb964
	v_lshrrev_b32_e32 v40, 16, v18
	v_mul_f16_e32 v38, 0xb964, v14
	v_mul_f16_sdwa v49, v14, v106 dst_sel:DWORD dst_unused:UNUSED_PAD src0_sel:WORD_1 src1_sel:DWORD
	v_fmamk_f16 v21, v18, 0x3b76, v32
	v_lshrrev_b32_e32 v44, 16, v17
	v_mul_f16_sdwa v33, v19, v102 dst_sel:DWORD dst_unused:UNUSED_PAD src0_sel:WORD_1 src1_sel:DWORD
	v_mul_f16_e32 v61, 0xbb29, v14
	v_fma_f16 v22, v40, 0x39e9, -v38
	v_fmamk_f16 v23, v18, 0x3722, v49
	v_add_f16_e32 v21, v21, v4
	v_fmamk_f16 v25, v44, 0x39e9, v33
	v_mul_f16_e32 v48, 0xbbf7, v19
	v_mov_b32_e32 v105, 0xba62
	v_fma_f16 v24, v40, 0x3722, -v61
	v_add_f16_sdwa v22, v22, v4 dst_sel:DWORD dst_unused:UNUSED_PAD src0_sel:DWORD src1_sel:WORD_1
	v_add_f16_e32 v26, v23, v4
	v_add_f16_e32 v21, v25, v21
	v_pk_add_f16 v23, v15, v0 neg_lo:[0,1] neg_hi:[0,1]
	v_fma_f16 v25, v17, 0x2de8, -v48
	v_mul_f16_sdwa v55, v19, v105 dst_sel:DWORD dst_unused:UNUSED_PAD src0_sel:WORD_1 src1_sel:DWORD
	v_add_f16_sdwa v27, v24, v4 dst_sel:DWORD dst_unused:UNUSED_PAD src0_sel:DWORD src1_sel:WORD_1
	v_pk_add_f16 v24, v0, v15
	v_mul_f16_e32 v65, 0xba62, v19
	v_mul_f16_sdwa v37, v23, v106 dst_sel:DWORD dst_unused:UNUSED_PAD src0_sel:WORD_1 src1_sel:DWORD
	v_add_f16_e32 v22, v25, v22
	v_fmamk_f16 v25, v44, 0xb8d2, v55
	v_mov_b32_e32 v34, 0x31e1
	v_lshrrev_b32_e32 v52, 16, v24
	v_mul_f16_e32 v51, 0xba62, v23
	v_fma_f16 v28, v17, 0xb8d2, -v65
	v_fmamk_f16 v30, v24, 0x3722, v37
	v_add_f16_e32 v35, v25, v26
	v_mul_f16_sdwa v57, v23, v34 dst_sel:DWORD dst_unused:UNUSED_PAD src0_sel:WORD_1 src1_sel:DWORD
	v_mul_f16_e32 v69, 0x31e1, v23
	v_pk_add_f16 v25, v12, v3 neg_lo:[0,1] neg_hi:[0,1]
	v_mov_b32_e32 v103, 0xbbf7
	v_pk_add_f16 v26, v3, v12
	v_fma_f16 v31, v52, 0xb8d2, -v51
	v_add_f16_e32 v27, v28, v27
	v_add_f16_e32 v21, v30, v21
	v_fmamk_f16 v28, v24, 0xbbdd, v57
	v_mov_b32_e32 v107, 0x3bb2
	v_fma_f16 v30, v52, 0xbbdd, -v69
	v_mul_f16_sdwa v50, v25, v103 dst_sel:DWORD dst_unused:UNUSED_PAD src0_sel:WORD_1 src1_sel:DWORD
	v_lshrrev_b32_e32 v60, 16, v26
	v_mul_f16_e32 v56, 0xb1e1, v25
	v_add_f16_e32 v22, v31, v22
	v_mul_f16_sdwa v62, v25, v107 dst_sel:DWORD dst_unused:UNUSED_PAD src0_sel:WORD_1 src1_sel:DWORD
	v_add_f16_e32 v31, v28, v35
	v_add_f16_e32 v30, v30, v27
	v_fmamk_f16 v28, v26, 0x2de8, v50
	v_fma_f16 v34, v60, 0xbbdd, -v56
	v_pk_add_f16 v27, v13, v2 neg_lo:[0,1] neg_hi:[0,1]
	v_mov_b32_e32 v101, 0xbbb2
	v_mul_f16_e32 v74, 0x3bb2, v25
	v_fmamk_f16 v35, v26, 0xb461, v62
	v_add_f16_e32 v21, v28, v21
	v_pk_add_f16 v28, v2, v13
	v_mul_f16_sdwa v53, v27, v101 dst_sel:DWORD dst_unused:UNUSED_PAD src0_sel:WORD_1 src1_sel:DWORD
	v_add_f16_e32 v22, v34, v22
	v_mov_b32_e32 v104, 0x3964
	v_fma_f16 v34, v60, 0xb461, -v74
	v_add_f16_e32 v31, v35, v31
	v_fmamk_f16 v35, v28, 0xb461, v53
	v_lshrrev_b32_e32 v67, 16, v28
	v_mul_f16_e32 v64, 0x3836, v27
	v_mul_f16_sdwa v68, v27, v104 dst_sel:DWORD dst_unused:UNUSED_PAD src0_sel:WORD_1 src1_sel:DWORD
	v_add_f16_e32 v30, v34, v30
	v_mul_f16_e32 v79, 0x3964, v27
	v_pk_add_f16 v34, v10, v7 neg_lo:[0,1] neg_hi:[0,1]
	v_add_f16_e32 v21, v35, v21
	v_fma_f16 v36, v67, 0xbacd, -v64
	v_fmamk_f16 v39, v28, 0x39e9, v68
	v_fma_f16 v45, v67, 0x39e9, -v79
	v_pk_add_f16 v35, v7, v10
	v_mul_f16_sdwa v59, v34, v105 dst_sel:DWORD dst_unused:UNUSED_PAD src0_sel:WORD_1 src1_sel:DWORD
	v_mul_f16_sdwa v70, v34, v100 dst_sel:DWORD dst_unused:UNUSED_PAD src0_sel:WORD_1 src1_sel:DWORD
	v_add_f16_e32 v22, v36, v22
	v_add_f16_e32 v31, v39, v31
	;; [unrolled: 1-line block ×3, first 2 shown]
	v_lshrrev_b32_e32 v71, 16, v35
	v_mul_f16_e32 v66, 0x3bb2, v34
	v_fmamk_f16 v45, v35, 0xb8d2, v59
	v_pk_add_f16 v36, v11, v6 neg_lo:[0,1] neg_hi:[0,1]
	v_mov_b32_e32 v108, 0xb836
	v_fmamk_f16 v47, v35, 0x3b76, v70
	v_mul_f16_e32 v82, 0xb5c8, v34
	v_fma_f16 v46, v71, 0xb461, -v66
	v_pk_add_f16 v39, v6, v11
	v_mul_f16_sdwa v63, v36, v108 dst_sel:DWORD dst_unused:UNUSED_PAD src0_sel:WORD_1 src1_sel:DWORD
	v_add_f16_e32 v21, v45, v21
	v_add_f16_e32 v31, v47, v31
	v_fma_f16 v45, v71, 0x3b76, -v82
	v_pk_mul_f16 v47, 0x3b7639e9, v18
	v_add_f16_e32 v22, v46, v22
	v_fmamk_f16 v46, v39, 0xbacd, v63
	v_lshrrev_b32_e32 v76, 16, v39
	v_mul_f16_e32 v75, 0x3b29, v36
	v_add_f16_e32 v30, v45, v30
	v_pk_mul_f16 v45, 0xbbf7b964, v19
	v_pk_fma_f16 v72, 0xb964b5c8, v14, v47 op_sel:[0,0,1] op_sel_hi:[1,1,0]
	v_add_f16_e32 v21, v46, v21
	v_fma_f16 v46, v76, 0x3722, -v75
	v_mul_f16_sdwa v80, v36, v103 dst_sel:DWORD dst_unused:UNUSED_PAD src0_sel:WORD_1 src1_sel:DWORD
	v_mul_f16_e32 v95, 0xbbf7, v36
	v_pk_fma_f16 v73, 0x2de839e9, v17, v45
	v_add_f16_sdwa v54, v72, v4 dst_sel:DWORD dst_unused:UNUSED_PAD src0_sel:WORD_1 src1_sel:DWORD
	v_pk_mul_f16 v85, 0x3722b8d2, v24
	v_add_f16_e32 v46, v46, v22
	v_fmamk_f16 v22, v39, 0x2de8, v80
	v_fma_f16 v58, v76, 0x2de8, -v95
	v_add_f16_sdwa v78, v73, v54 dst_sel:DWORD dst_unused:UNUSED_PAD src0_sel:WORD_1 src1_sel:DWORD
	v_pk_fma_f16 v77, 0xba62bb29, v23, v85 op_sel:[0,0,1] op_sel_hi:[1,1,0]
	v_pk_mul_f16 v88, 0x2de8bbdd, v26
	v_pk_fma_f16 v84, 0xb964b5c8, v14, v47 op_sel:[0,0,1] op_sel_hi:[1,1,0] neg_lo:[0,1,0] neg_hi:[0,1,0]
	v_add_f16_e32 v31, v22, v31
	v_add_f16_e32 v111, v58, v30
	v_pk_add_f16 v54, v8, v9 neg_lo:[0,1] neg_hi:[0,1]
	v_add_f16_sdwa v22, v77, v78 dst_sel:DWORD dst_unused:UNUSED_PAD src0_sel:WORD_1 src1_sel:DWORD
	v_pk_fma_f16 v78, 0xb1e1bbf7, v25, v88 op_sel:[0,0,1] op_sel_hi:[1,1,0]
	v_pk_mul_f16 v30, 0xb461bacd, v28
	v_mov_b32_e32 v109, 0xb1e1
	v_pk_fma_f16 v87, 0x2de839e9, v17, v45 neg_lo:[0,0,1] neg_hi:[0,0,1]
	v_add_f16_sdwa v45, v84, v4 dst_sel:DWORD dst_unused:UNUSED_PAD src0_sel:DWORD src1_sel:WORD_1
	v_pk_add_f16 v58, v9, v8
	v_add_f16_sdwa v22, v78, v22 dst_sel:DWORD dst_unused:UNUSED_PAD src0_sel:WORD_1 src1_sel:DWORD
	v_pk_fma_f16 v83, 0x3836bbb2, v27, v30 op_sel:[0,0,1] op_sel_hi:[1,1,0]
	v_pk_mul_f16 v47, 0xb8d2b461, v35
	v_mul_f16_sdwa v81, v54, v109 dst_sel:DWORD dst_unused:UNUSED_PAD src0_sel:WORD_1 src1_sel:DWORD
	v_pk_fma_f16 v89, 0xba62bb29, v23, v85 op_sel:[0,0,1] op_sel_hi:[1,1,0] neg_lo:[0,1,0] neg_hi:[0,1,0]
	v_add_f16_e32 v45, v87, v45
	v_add_f16_sdwa v22, v83, v22 dst_sel:DWORD dst_unused:UNUSED_PAD src0_sel:WORD_1 src1_sel:DWORD
	v_pk_fma_f16 v86, 0x3bb2ba62, v34, v47 op_sel:[0,0,1] op_sel_hi:[1,1,0]
	v_fmamk_f16 v91, v58, 0xbbdd, v81
	v_pk_fma_f16 v90, 0xb1e1bbf7, v25, v88 op_sel:[0,0,1] op_sel_hi:[1,1,0] neg_lo:[0,1,0] neg_hi:[0,1,0]
	v_add_f16_e32 v45, v89, v45
	v_pk_mul_f16 v92, 0xbacd3722, v39
	v_add_f16_sdwa v93, v86, v22 dst_sel:DWORD dst_unused:UNUSED_PAD src0_sel:WORD_1 src1_sel:DWORD
	v_add_f16_e32 v22, v91, v21
	v_pk_fma_f16 v91, 0x3836bbb2, v27, v30 op_sel:[0,0,1] op_sel_hi:[1,1,0] neg_lo:[0,1,0] neg_hi:[0,1,0]
	v_add_f16_e32 v21, v90, v45
	v_pk_fma_f16 v94, 0x3bb2ba62, v34, v47 op_sel:[0,0,1] op_sel_hi:[1,1,0] neg_lo:[0,1,0] neg_hi:[0,1,0]
	v_pk_fma_f16 v85, 0x3b29b836, v36, v92 op_sel:[0,0,1] op_sel_hi:[1,1,0]
	v_pk_mul_f16 v112, 0xbbdd3b76, v58
	v_lshrrev_b32_e32 v98, 16, v58
	v_add_f16_e32 v21, v91, v21
	v_mul_f16_e32 v96, 0x35c8, v54
	v_mul_f16_sdwa v97, v54, v108 dst_sel:DWORD dst_unused:UNUSED_PAD src0_sel:WORD_1 src1_sel:DWORD
	v_mul_f16_e32 v99, 0xb836, v54
	v_pk_fma_f16 v92, 0x3b29b836, v36, v92 op_sel:[0,0,1] op_sel_hi:[1,1,0] neg_lo:[0,1,0] neg_hi:[0,1,0]
	v_add_f16_e32 v21, v94, v21
	v_add_f16_sdwa v30, v85, v93 dst_sel:DWORD dst_unused:UNUSED_PAD src0_sel:WORD_1 src1_sel:DWORD
	v_pk_fma_f16 v88, 0x35c8b1e1, v54, v112 op_sel:[0,0,1] op_sel_hi:[1,1,0]
	v_fma_f16 v45, v98, 0x3b76, -v96
	v_fmamk_f16 v113, v58, 0xbacd, v97
	v_fma_f16 v114, v98, 0xbacd, -v99
	v_pk_fma_f16 v93, 0x35c8b1e1, v54, v112 op_sel:[0,0,1] op_sel_hi:[1,1,0] neg_lo:[0,1,0] neg_hi:[0,1,0]
	v_add_f16_e32 v112, v92, v21
	v_add_f16_sdwa v21, v88, v30 dst_sel:DWORD dst_unused:UNUSED_PAD src0_sel:WORD_1 src1_sel:DWORD
	v_add_f16_e32 v47, v45, v46
	v_add_f16_e32 v30, v113, v31
	;; [unrolled: 1-line block ×4, first 2 shown]
	v_mul_lo_u16 v45, v42, 17
	s_barrier
	buffer_gl0_inv
	s_and_saveexec_b32 s4, vcc_lo
	s_cbranch_execz .LBB0_7
; %bb.6:
	v_mul_f16_e32 v113, 0x2de8, v40
	v_mul_f16_e32 v114, 0xbbdd, v17
	v_mul_f16_sdwa v115, v14, v103 dst_sel:DWORD dst_unused:UNUSED_PAD src0_sel:WORD_1 src1_sel:DWORD
	v_mul_f16_e32 v117, 0xb461, v52
	v_mul_f16_sdwa v116, v19, v109 dst_sel:DWORD dst_unused:UNUSED_PAD src0_sel:WORD_1 src1_sel:DWORD
	v_fmamk_f16 v112, v14, 0x3bf7, v113
	v_fmamk_f16 v119, v19, 0x31e1, v114
	v_mul_f16_e32 v120, 0x3b76, v60
	v_fmamk_f16 v123, v23, 0xbbb2, v117
	v_fmamk_f16 v125, v18, 0x2de8, v115
	v_add_f16_sdwa v112, v112, v4 dst_sel:DWORD dst_unused:UNUSED_PAD src0_sel:DWORD src1_sel:WORD_1
	v_mul_f16_sdwa v118, v23, v107 dst_sel:DWORD dst_unused:UNUSED_PAD src0_sel:WORD_1 src1_sel:DWORD
	v_mul_f16_e32 v121, 0x3722, v67
	v_mov_b32_e32 v122, 0x35c8
	v_fmamk_f16 v126, v25, 0xb5c8, v120
	v_add_f16_e32 v119, v119, v112
	v_add_f16_e32 v125, v125, v4
	v_mul_f16_e32 v124, 0xbacd, v71
	v_fmamk_f16 v127, v24, 0xb461, v118
	v_fmamk_f16 v128, v27, 0x3b29, v121
	v_add_f16_e32 v119, v123, v119
	v_fmamk_f16 v123, v44, 0xbbdd, v116
	v_mul_f16_sdwa v122, v25, v122 dst_sel:DWORD dst_unused:UNUSED_PAD src0_sel:WORD_1 src1_sel:DWORD
	v_alignbit_b32 v111, v110, v110, 16
	v_alignbit_b32 v110, v4, v4, 16
	v_add_f16_e32 v119, v126, v119
	v_add_f16_e32 v123, v123, v125
	v_mul_f16_sdwa v125, v27, v106 dst_sel:DWORD dst_unused:UNUSED_PAD src0_sel:WORD_1 src1_sel:DWORD
	v_fmamk_f16 v126, v34, 0x3836, v124
	v_mul_f16_e32 v112, 0xb8d2, v76
	v_add_f16_e32 v119, v128, v119
	v_fmamk_f16 v128, v26, 0x3b76, v122
	v_add_f16_e32 v123, v127, v123
	v_pk_add_f16 v5, v5, v110 op_sel:[0,1] op_sel_hi:[1,0]
	v_fmamk_f16 v127, v36, 0xba62, v112
	v_add_f16_e32 v119, v126, v119
	v_fmamk_f16 v126, v28, 0x3722, v125
	v_add_f16_e32 v123, v128, v123
	v_mul_f16_e32 v128, 0xb461, v40
	v_pk_add_f16 v5, v111, v5
	v_mul_f16_e32 v130, 0xbacd, v17
	v_add_f16_e32 v119, v127, v119
	v_add_f16_e32 v111, v126, v123
	v_mul_f16_sdwa v126, v34, v108 dst_sel:DWORD dst_unused:UNUSED_PAD src0_sel:WORD_1 src1_sel:DWORD
	v_fmamk_f16 v129, v14, 0x3bb2, v128
	v_mul_f16_e32 v123, 0x39e9, v98
	v_mov_b32_e32 v127, 0x3a62
	v_fmamk_f16 v134, v19, 0xb836, v130
	v_fmamk_f16 v132, v35, 0xbacd, v126
	v_add_f16_sdwa v129, v129, v4 dst_sel:DWORD dst_unused:UNUSED_PAD src0_sel:DWORD src1_sel:WORD_1
	v_mul_f16_e32 v135, 0x39e9, v52
	v_fmamk_f16 v131, v54, 0xb964, v123
	v_mul_f16_sdwa v133, v36, v127 dst_sel:DWORD dst_unused:UNUSED_PAD src0_sel:WORD_1 src1_sel:DWORD
	v_add_f16_e32 v132, v132, v111
	v_pk_add_f16 v111, v15, v5
	v_add_f16_e32 v15, v134, v129
	v_fmamk_f16 v129, v23, 0xb964, v135
	v_fmamk_f16 v136, v39, 0xb8d2, v133
	v_add_f16_e32 v5, v131, v119
	v_mul_f16_e32 v131, 0x3722, v60
	v_mov_b32_e32 v134, 0x3836
	v_add_f16_e32 v15, v129, v15
	v_mul_f16_sdwa v129, v14, v101 dst_sel:DWORD dst_unused:UNUSED_PAD src0_sel:WORD_1 src1_sel:DWORD
	v_add_f16_e32 v119, v136, v132
	v_fmamk_f16 v136, v25, 0x3b29, v131
	v_mul_f16_e32 v137, 0xbbdd, v67
	v_mul_f16_sdwa v134, v19, v134 dst_sel:DWORD dst_unused:UNUSED_PAD src0_sel:WORD_1 src1_sel:DWORD
	v_fmamk_f16 v139, v18, 0xb461, v129
	v_mul_f16_sdwa v132, v54, v104 dst_sel:DWORD dst_unused:UNUSED_PAD src0_sel:WORD_1 src1_sel:DWORD
	v_add_f16_e32 v15, v136, v15
	v_fmamk_f16 v136, v27, 0x31e1, v137
	v_mul_f16_e32 v140, 0x2de8, v71
	v_add_f16_e32 v139, v139, v4
	v_fmamk_f16 v141, v44, 0xbacd, v134
	v_mul_f16_sdwa v142, v23, v104 dst_sel:DWORD dst_unused:UNUSED_PAD src0_sel:WORD_1 src1_sel:DWORD
	v_fmamk_f16 v138, v58, 0x39e9, v132
	v_add_f16_e32 v136, v136, v15
	v_fmamk_f16 v143, v34, 0xbbf7, v140
	v_mul_f16_e32 v144, 0x3b76, v76
	v_add_f16_e32 v139, v141, v139
	v_fmamk_f16 v141, v24, 0x39e9, v142
	v_mul_f16_sdwa v145, v25, v106 dst_sel:DWORD dst_unused:UNUSED_PAD src0_sel:WORD_1 src1_sel:DWORD
	v_add_f16_e32 v15, v138, v119
	v_add_f16_e32 v106, v143, v136
	v_fmamk_f16 v119, v36, 0x35c8, v144
	v_add_f16_e32 v136, v141, v139
	v_fmamk_f16 v138, v26, 0x3722, v145
	v_mul_f16_sdwa v139, v27, v109 dst_sel:DWORD dst_unused:UNUSED_PAD src0_sel:WORD_1 src1_sel:DWORD
	v_mov_b32_e32 v141, 0x3bf7
	v_add_f16_e32 v106, v119, v106
	v_mul_f16_e32 v119, 0xb8d2, v40
	v_add_f16_e32 v136, v138, v136
	v_fmamk_f16 v138, v28, 0xbbdd, v139
	v_mul_f16_sdwa v143, v34, v141 dst_sel:DWORD dst_unused:UNUSED_PAD src0_sel:WORD_1 src1_sel:DWORD
	v_mul_f16_e32 v148, 0xb461, v17
	v_fmamk_f16 v147, v14, 0x3a62, v119
	v_mul_f16_sdwa v149, v36, v100 dst_sel:DWORD dst_unused:UNUSED_PAD src0_sel:WORD_1 src1_sel:DWORD
	v_add_f16_e32 v136, v138, v136
	v_fmamk_f16 v138, v35, 0x2de8, v143
	v_mul_f16_e32 v146, 0xb8d2, v98
	v_add_f16_sdwa v147, v147, v4 dst_sel:DWORD dst_unused:UNUSED_PAD src0_sel:DWORD src1_sel:WORD_1
	v_fmamk_f16 v150, v19, 0xbbb2, v148
	v_mul_f16_e32 v151, 0x3b76, v52
	v_add_f16_e32 v136, v138, v136
	v_fmamk_f16 v138, v39, 0x3b76, v149
	v_fmamk_f16 v152, v54, 0x3a62, v146
	v_add_f16_e32 v147, v150, v147
	v_fmamk_f16 v150, v23, 0x35c8, v151
	v_mul_f16_e32 v153, 0xbacd, v60
	v_add_f16_e32 v136, v138, v136
	v_mul_f16_sdwa v138, v14, v105 dst_sel:DWORD dst_unused:UNUSED_PAD src0_sel:WORD_1 src1_sel:DWORD
	v_add_f16_e32 v106, v152, v106
	v_add_f16_e32 v147, v150, v147
	v_fmamk_f16 v150, v25, 0x3836, v153
	v_mul_f16_e32 v152, 0x2de8, v67
	v_mul_f16_sdwa v154, v54, v105 dst_sel:DWORD dst_unused:UNUSED_PAD src0_sel:WORD_1 src1_sel:DWORD
	v_fmamk_f16 v105, v18, 0xb8d2, v138
	v_mul_f16_sdwa v107, v19, v107 dst_sel:DWORD dst_unused:UNUSED_PAD src0_sel:WORD_1 src1_sel:DWORD
	v_add_f16_e32 v147, v150, v147
	v_fmamk_f16 v150, v27, 0xbbf7, v152
	v_mul_f16_e32 v155, 0x39e9, v71
	v_add_f16_e32 v105, v105, v4
	v_fmamk_f16 v156, v44, 0xb461, v107
	v_mul_f16_sdwa v157, v23, v100 dst_sel:DWORD dst_unused:UNUSED_PAD src0_sel:WORD_1 src1_sel:DWORD
	v_add_f16_e32 v147, v150, v147
	v_fmamk_f16 v150, v34, 0x3964, v155
	v_mul_f16_e32 v158, 0xbbdd, v76
	v_add_f16_e32 v105, v156, v105
	;; [unrolled: 6-line block ×3, first 2 shown]
	v_fmamk_f16 v156, v26, 0xbacd, v159
	v_mul_f16_sdwa v141, v27, v141 dst_sel:DWORD dst_unused:UNUSED_PAD src0_sel:WORD_1 src1_sel:DWORD
	v_fmamk_f16 v161, v58, 0xb8d2, v154
	v_add_f16_e32 v147, v150, v147
	v_fmamk_f16 v150, v54, 0xbb29, v160
	v_add_f16_e32 v156, v156, v105
	v_fmamk_f16 v162, v28, 0x2de8, v141
	v_mul_f16_sdwa v163, v34, v102 dst_sel:DWORD dst_unused:UNUSED_PAD src0_sel:WORD_1 src1_sel:DWORD
	v_add_f16_e32 v102, v161, v136
	v_add_f16_e32 v105, v150, v147
	v_mul_f16_e32 v136, 0xbacd, v40
	v_add_f16_e32 v147, v162, v156
	v_fmamk_f16 v150, v35, 0x39e9, v163
	v_mul_f16_sdwa v156, v36, v109 dst_sel:DWORD dst_unused:UNUSED_PAD src0_sel:WORD_1 src1_sel:DWORD
	v_mov_b32_e32 v161, 0x3b29
	v_fmamk_f16 v162, v14, 0x3836, v136
	v_mul_f16_e32 v164, 0x3722, v17
	v_add_f16_e32 v147, v150, v147
	v_fmamk_f16 v150, v39, 0xbbdd, v156
	v_mul_f16_sdwa v165, v54, v161 dst_sel:DWORD dst_unused:UNUSED_PAD src0_sel:WORD_1 src1_sel:DWORD
	v_fmac_f16_e32 v136, 0xb836, v14
	v_add_f16_sdwa v162, v162, v4 dst_sel:DWORD dst_unused:UNUSED_PAD src0_sel:DWORD src1_sel:WORD_1
	v_fmamk_f16 v166, v19, 0xbb29, v164
	v_mul_f16_e32 v167, 0x2de8, v52
	v_add_f16_e32 v147, v150, v147
	v_fmamk_f16 v150, v58, 0x3722, v165
	v_mul_f16_sdwa v108, v14, v108 dst_sel:DWORD dst_unused:UNUSED_PAD src0_sel:WORD_1 src1_sel:DWORD
	v_add_f16_sdwa v136, v136, v4 dst_sel:DWORD dst_unused:UNUSED_PAD src0_sel:DWORD src1_sel:WORD_1
	v_fmac_f16_e32 v164, 0x3b29, v19
	v_add_f16_e32 v162, v166, v162
	v_fmamk_f16 v166, v23, 0x3bf7, v167
	v_mul_f16_e32 v168, 0xb8d2, v60
	v_add_f16_e32 v147, v150, v147
	v_fmamk_f16 v150, v18, 0xbacd, v108
	v_mul_f16_sdwa v161, v19, v161 dst_sel:DWORD dst_unused:UNUSED_PAD src0_sel:WORD_1 src1_sel:DWORD
	v_fma_f16 v108, v18, 0xbacd, -v108
	v_add_f16_e32 v136, v164, v136
	v_fmac_f16_e32 v167, 0xbbf7, v23
	v_add_f16_e32 v162, v166, v162
	v_fmamk_f16 v166, v25, 0xba62, v168
	v_mul_f16_e32 v169, 0x3b76, v67
	v_add_f16_e32 v150, v150, v4
	v_fmamk_f16 v170, v44, 0x3722, v161
	v_mul_f16_sdwa v103, v23, v103 dst_sel:DWORD dst_unused:UNUSED_PAD src0_sel:WORD_1 src1_sel:DWORD
	v_add_f16_e32 v108, v108, v4
	v_fma_f16 v161, v44, 0x3722, -v161
	v_add_f16_e32 v136, v167, v136
	v_fmac_f16_e32 v168, 0x3a62, v25
	v_add_f16_e32 v162, v166, v162
	v_fmamk_f16 v166, v27, 0x35c8, v169
	v_mul_f16_e32 v171, 0xbbdd, v71
	v_add_f16_e32 v150, v170, v150
	v_fmamk_f16 v170, v24, 0x2de8, v103
	v_mul_f16_sdwa v127, v25, v127 dst_sel:DWORD dst_unused:UNUSED_PAD src0_sel:WORD_1 src1_sel:DWORD
	v_add_f16_e32 v108, v161, v108
	v_fma_f16 v103, v24, 0x2de8, -v103
	v_add_f16_e32 v136, v168, v136
	v_fmac_f16_e32 v169, 0xb5c8, v27
	v_add_f16_e32 v162, v166, v162
	v_fmamk_f16 v166, v34, 0x31e1, v171
	v_mul_f16_e32 v172, 0x39e9, v76
	v_add_f16_e32 v150, v170, v150
	v_fmamk_f16 v170, v26, 0xb8d2, v127
	v_mul_f16_sdwa v100, v27, v100 dst_sel:DWORD dst_unused:UNUSED_PAD src0_sel:WORD_1 src1_sel:DWORD
	v_fmac_f16_e32 v119, 0xba62, v14
	v_add_f16_e32 v103, v103, v108
	v_fma_f16 v108, v26, 0xb8d2, -v127
	v_add_f16_e32 v127, v169, v136
	v_fmac_f16_e32 v171, 0xb1e1, v34
	v_add_f16_e32 v162, v166, v162
	v_fmamk_f16 v166, v36, 0xb964, v172
	v_mul_f16_e32 v173, 0xb461, v98
	v_add_f16_e32 v150, v170, v150
	v_fmamk_f16 v170, v28, 0x3b76, v100
	v_mul_f16_sdwa v109, v34, v109 dst_sel:DWORD dst_unused:UNUSED_PAD src0_sel:WORD_1 src1_sel:DWORD
	v_add_f16_sdwa v119, v119, v4 dst_sel:DWORD dst_unused:UNUSED_PAD src0_sel:DWORD src1_sel:WORD_1
	v_fmac_f16_e32 v148, 0x3bb2, v19
	v_add_f16_e32 v103, v108, v103
	v_fma_f16 v100, v28, 0x3b76, -v100
	v_add_f16_e32 v108, v171, v127
	v_fmac_f16_e32 v172, 0x3964, v36
	v_add_f16_e32 v162, v166, v162
	v_fmamk_f16 v166, v54, 0x3bb2, v173
	v_mul_f16_sdwa v104, v36, v104 dst_sel:DWORD dst_unused:UNUSED_PAD src0_sel:WORD_1 src1_sel:DWORD
	v_add_f16_e32 v119, v148, v119
	v_fmac_f16_e32 v151, 0xb5c8, v23
	v_add_f16_e32 v100, v100, v103
	v_fma_f16 v103, v35, 0xbbdd, -v109
	v_add_f16_e32 v108, v172, v108
	v_fmac_f16_e32 v173, 0xbbb2, v54
	v_add_f16_e32 v162, v166, v162
	v_fmamk_f16 v166, v39, 0x39e9, v104
	v_mul_f16_sdwa v101, v54, v101 dst_sel:DWORD dst_unused:UNUSED_PAD src0_sel:WORD_1 src1_sel:DWORD
	v_add_f16_e32 v119, v151, v119
	v_fmac_f16_e32 v153, 0xb836, v25
	v_add_f16_e32 v100, v103, v100
	v_fma_f16 v103, v39, 0x39e9, -v104
	v_add_f16_e32 v104, v173, v108
	v_fma_f16 v108, v18, 0xb8d2, -v138
	v_add_f16_e32 v150, v170, v150
	v_fmamk_f16 v170, v35, 0xbbdd, v109
	v_fmamk_f16 v164, v58, 0xb461, v101
	v_add_f16_e32 v109, v153, v119
	v_fmac_f16_e32 v152, 0x3bf7, v27
	v_add_f16_e32 v100, v103, v100
	v_fma_f16 v101, v58, 0xb461, -v101
	v_add_f16_e32 v103, v108, v4
	v_fma_f16 v107, v44, 0xb461, -v107
	v_add_f16_e32 v109, v152, v109
	v_fmac_f16_e32 v155, 0xb964, v34
	v_add_f16_e32 v100, v101, v100
	v_fma_f16 v119, v44, 0xbacd, -v134
	v_add_f16_e32 v101, v107, v103
	v_fma_f16 v103, v24, 0x3b76, -v157
	;; [unrolled: 2-line block ×3, first 2 shown]
	v_fmac_f16_e32 v113, 0xbbf7, v14
	v_fmac_f16_e32 v114, 0xb1e1, v19
	v_add_f16_e32 v101, v103, v101
	v_fma_f16 v103, v26, 0xbacd, -v159
	v_add_f16_e32 v109, v109, v4
	v_add_f16_sdwa v113, v113, v4 dst_sel:DWORD dst_unused:UNUSED_PAD src0_sel:DWORD src1_sel:WORD_1
	v_fma_f16 v115, v18, 0x2de8, -v115
	v_fmac_f16_e32 v117, 0x3bb2, v23
	v_add_f16_e32 v101, v103, v101
	v_fma_f16 v103, v28, 0x2de8, -v141
	v_add_f16_e32 v109, v119, v109
	v_fma_f16 v119, v24, 0x39e9, -v142
	v_add_f16_e32 v113, v114, v113
	v_add_f16_e32 v114, v115, v4
	;; [unrolled: 1-line block ×3, first 2 shown]
	v_fma_f16 v103, v35, 0x39e9, -v163
	v_add_f16_e32 v109, v119, v109
	v_fma_f16 v119, v26, 0x3722, -v145
	v_fma_f16 v115, v44, 0xbbdd, -v116
	v_add_f16_e32 v113, v117, v113
	v_add_f16_e32 v101, v103, v101
	v_fma_f16 v103, v39, 0xbbdd, -v156
	v_add_f16_e32 v109, v119, v109
	v_fma_f16 v119, v28, 0xbbdd, -v139
	v_fmac_f16_e32 v120, 0x35c8, v25
	v_add_f16_e32 v114, v115, v114
	v_add_f16_e32 v101, v103, v101
	v_fma_f16 v103, v58, 0x3722, -v165
	v_fma_f16 v115, v24, 0xb461, -v118
	v_add_f16_e32 v113, v120, v113
	v_mul_f16_e32 v116, 0xb8d2, v17
	v_fmac_f16_e32 v121, 0xbb29, v27
	v_add_f16_e32 v101, v103, v101
	v_add_f16_e32 v103, v119, v109
	v_fma_f16 v109, v35, 0x2de8, -v143
	v_add_f16_e32 v65, v65, v116
	v_add_f16_e32 v113, v121, v113
	v_fmac_f16_e32 v124, 0xb836, v34
	v_fmac_f16_e32 v112, 0x3a62, v36
	v_add_f16_e32 v103, v109, v103
	v_fma_f16 v109, v39, 0x3b76, -v149
	v_fmac_f16_e32 v123, 0x3964, v54
	v_add_f16_e32 v113, v124, v113
	v_pk_add_f16 v12, v12, v111
	v_fmac_f16_e32 v158, 0xb1e1, v36
	v_add_f16_e32 v103, v109, v103
	v_fma_f16 v109, v58, 0xb8d2, -v154
	v_fmac_f16_e32 v128, 0xbbb2, v14
	v_pk_add_f16 v12, v13, v12
	v_add_f16_e32 v107, v158, v108
	v_fmac_f16_e32 v130, 0x3836, v19
	v_add_f16_e32 v103, v109, v103
	v_mul_f16_e32 v109, 0x3722, v40
	v_mul_f16_e32 v40, 0x39e9, v40
	v_pk_add_f16 v10, v10, v12
	v_add_f16_sdwa v108, v128, v4 dst_sel:DWORD dst_unused:UNUSED_PAD src0_sel:DWORD src1_sel:WORD_1
	v_fmac_f16_e32 v135, 0x3964, v23
	v_add_f16_e32 v61, v61, v109
	v_add_f16_e32 v109, v115, v114
	v_fma_f16 v114, v26, 0x3b76, -v122
	v_mul_f16_e32 v115, 0xbbdd, v52
	v_add_f16_e32 v38, v38, v40
	v_add_f16_sdwa v61, v61, v4 dst_sel:DWORD dst_unused:UNUSED_PAD src0_sel:DWORD src1_sel:WORD_1
	v_pk_add_f16 v10, v11, v10
	v_add_f16_e32 v109, v114, v109
	v_add_f16_e32 v69, v69, v115
	v_mul_f16_e32 v114, 0xb461, v60
	v_add_f16_e32 v61, v65, v61
	v_fma_f16 v65, v28, 0x3722, -v125
	v_add_f16_sdwa v38, v38, v4 dst_sel:DWORD dst_unused:UNUSED_PAD src0_sel:DWORD src1_sel:WORD_1
	v_mul_f16_e32 v52, 0xb8d2, v52
	v_add_f16_e32 v74, v74, v114
	v_add_f16_e32 v61, v69, v61
	;; [unrolled: 1-line block ×3, first 2 shown]
	v_fma_f16 v69, v35, 0xbacd, -v126
	v_add_f16_e32 v109, v112, v113
	v_mul_f16_e32 v112, 0x39e9, v67
	v_add_f16_e32 v61, v74, v61
	v_pk_add_f16 v8, v8, v10
	v_add_f16_e32 v65, v69, v65
	v_fma_f16 v69, v39, 0xb8d2, -v133
	v_add_f16_e32 v74, v79, v112
	v_add_f16_e32 v79, v123, v109
	v_mul_f16_e32 v109, 0x3722, v18
	v_mul_f16_e32 v112, 0x3b76, v71
	v_add_f16_e32 v65, v69, v65
	v_mul_f16_e32 v69, 0xb8d2, v44
	v_mul_f16_e32 v44, 0x39e9, v44
	v_sub_f16_e32 v49, v109, v49
	v_mul_f16_e32 v40, 0x2de8, v26
	v_mul_f16_e32 v60, 0xbbdd, v60
	v_sub_f16_e32 v55, v69, v55
	v_mul_f16_e32 v69, 0xbbdd, v24
	v_add_f16_e32 v49, v49, v4
	v_sub_f16_e32 v12, v44, v33
	v_add_f16_e32 v51, v51, v52
	v_pk_add_f16 v8, v9, v8
	v_add_f16_e32 v61, v74, v61
	v_add_f16_e32 v49, v55, v49
	v_sub_f16_e32 v55, v69, v57
	v_mul_f16_e32 v69, 0xb461, v26
	v_mul_f16_e32 v57, 0x3b76, v18
	v_add_f16_e32 v74, v82, v112
	v_mul_f16_e32 v109, 0x2de8, v76
	v_add_f16_e32 v49, v55, v49
	v_mul_f16_e32 v55, 0x2de8, v17
	v_sub_f16_e32 v62, v69, v62
	v_sub_f16_e32 v32, v57, v32
	v_mul_f16_e32 v69, 0x3722, v24
	v_mul_f16_e32 v67, 0xbacd, v67
	v_add_f16_e32 v48, v48, v55
	v_add_f16_e32 v49, v62, v49
	v_mul_f16_e32 v62, 0x39e9, v28
	v_add_f16_e32 v4, v32, v4
	v_sub_f16_e32 v11, v69, v37
	v_add_f16_e32 v38, v48, v38
	v_mul_f16_e32 v48, 0x3b76, v35
	v_sub_f16_e32 v62, v62, v68
	v_add_f16_e32 v4, v12, v4
	v_mul_f16_e32 v55, 0xb461, v28
	v_add_f16_e32 v38, v51, v38
	v_sub_f16_e32 v48, v48, v70
	v_add_f16_e32 v49, v62, v49
	v_mul_f16_e32 v62, 0x2de8, v39
	v_add_f16_e32 v56, v56, v60
	v_mul_f16_e32 v70, 0xbacd, v58
	v_add_f16_e32 v4, v11, v4
	v_add_f16_e32 v48, v48, v49
	v_sub_f16_e32 v13, v62, v80
	v_sub_f16_e32 v11, v40, v50
	v_pk_add_f16 v6, v6, v8
	v_add_f16_e32 v61, v74, v61
	v_add_f16_e32 v74, v95, v109
	v_mul_f16_e32 v68, 0xb8d2, v35
	v_mul_f16_e32 v71, 0xb461, v71
	v_add_f16_e32 v38, v56, v38
	v_add_f16_e32 v56, v64, v67
	;; [unrolled: 1-line block ×3, first 2 shown]
	v_sub_f16_e32 v12, v70, v97
	v_add_f16_e32 v4, v11, v4
	v_sub_f16_e32 v11, v55, v53
	v_bfi_b32 v8, 0xffff, v72, v84
	v_pk_add_f16 v6, v7, v6
	v_add_f16_e32 v61, v74, v61
	v_mul_f16_e32 v52, 0xbacd, v39
	v_mul_f16_e32 v74, 0x3722, v76
	v_add_f16_e32 v38, v56, v38
	v_add_f16_e32 v49, v66, v71
	v_add_f16_e32 v9, v12, v13
	v_bfi_b32 v12, 0xffff, v73, v87
	v_add_f16_e32 v4, v11, v4
	v_sub_f16_e32 v7, v68, v59
	v_pk_add_f16 v2, v2, v6
	v_pk_add_f16 v6, v8, v110
	v_mul_f16_e32 v60, 0xbbdd, v58
	v_mul_f16_e32 v76, 0x3b76, v98
	v_add_f16_e32 v32, v49, v38
	v_add_f16_e32 v33, v75, v74
	v_bfi_b32 v13, 0xffff, v77, v89
	v_add_f16_e32 v4, v7, v4
	v_sub_f16_e32 v7, v52, v63
	v_pk_add_f16 v2, v3, v2
	v_pk_add_f16 v6, v12, v6
	v_add_f16_e32 v32, v33, v32
	v_add_f16_e32 v10, v96, v76
	v_bfi_b32 v11, 0xffff, v78, v90
	v_add_f16_e32 v4, v7, v4
	v_sub_f16_e32 v7, v60, v81
	v_pk_add_f16 v0, v0, v2
	v_and_b32_e32 v2, 0xffff, v45
	v_pk_add_f16 v6, v13, v6
	v_pk_mul_f16 v12, 0xbbdd, v18 op_sel_hi:[0,1]
	v_add_f16_e32 v10, v10, v32
	v_bfi_b32 v32, 0xffff, v83, v91
	v_add_f16_e32 v4, v7, v4
	v_pk_add_f16 v0, v1, v0
	v_add_lshl_u32 v1, v29, v2, 2
	v_pk_add_f16 v2, v11, v6
	v_pk_fma_f16 v6, 0xb1e1, v14, v12 op_sel:[0,0,1] op_sel_hi:[0,1,0] neg_lo:[0,1,0] neg_hi:[0,1,0]
	v_pk_mul_f16 v7, 0x35c8, v19 op_sel_hi:[0,1]
	v_pk_fma_f16 v11, 0xb1e1, v14, v12 op_sel:[0,0,1] op_sel_hi:[0,1,0]
	v_bfi_b32 v37, 0xffff, v86, v94
	v_pk_add_f16 v2, v32, v2
	v_pk_add_f16 v6, v6, v110
	v_pk_fma_f16 v12, 0x3b76, v17, v7 op_sel_hi:[0,1,1] neg_lo:[0,0,1] neg_hi:[0,0,1]
	v_pk_mul_f16 v13, 0xbacd, v24 op_sel_hi:[0,1]
	v_pk_add_f16 v11, v11, v110
	v_pk_fma_f16 v7, 0x3b76, v17, v7 op_sel_hi:[0,1,1]
	v_add_f16_e32 v108, v130, v108
	v_bfi_b32 v8, 0xffff, v85, v92
	v_pk_add_f16 v2, v37, v2
	v_pk_add_f16 v6, v12, v6
	v_pk_fma_f16 v12, 0xb836, v23, v13 op_sel:[0,0,1] op_sel_hi:[0,1,0] neg_lo:[0,1,0] neg_hi:[0,1,0]
	v_pk_mul_f16 v14, 0x39e9, v26 op_sel_hi:[0,1]
	v_pk_add_f16 v7, v7, v11
	v_pk_fma_f16 v11, 0xb836, v23, v13 op_sel:[0,0,1] op_sel_hi:[0,1,0]
	v_add_f16_e32 v108, v135, v108
	v_fmac_f16_e32 v131, 0xbb29, v25
	v_bfi_b32 v3, 0xffff, v88, v93
	v_pk_add_f16 v2, v8, v2
	v_pk_add_f16 v6, v12, v6
	v_pk_fma_f16 v8, 0x3964, v25, v14 op_sel:[0,0,1] op_sel_hi:[0,1,0] neg_lo:[0,1,0] neg_hi:[0,1,0]
	v_pk_mul_f16 v12, 0xb8d2, v28 op_sel_hi:[0,1]
	v_pk_add_f16 v7, v11, v7
	v_pk_fma_f16 v11, 0x3964, v25, v14 op_sel:[0,0,1] op_sel_hi:[0,1,0]
	v_add_f16_e32 v108, v131, v108
	v_fmac_f16_e32 v137, 0xb1e1, v27
	v_pk_add_f16 v2, v3, v2
	v_pk_add_f16 v3, v8, v6
	v_pk_fma_f16 v6, 0xba62, v27, v12 op_sel:[0,0,1] op_sel_hi:[0,1,0] neg_lo:[0,1,0] neg_hi:[0,1,0]
	v_pk_mul_f16 v8, 0x3722, v35 op_sel_hi:[0,1]
	v_pk_add_f16 v7, v11, v7
	v_pk_fma_f16 v11, 0xba62, v27, v12 op_sel:[0,0,1] op_sel_hi:[0,1,0]
	v_add_f16_e32 v108, v137, v108
	v_fmac_f16_e32 v140, 0x3bf7, v34
	v_pk_add_f16 v3, v6, v3
	v_pk_fma_f16 v6, 0x3b29, v34, v8 op_sel:[0,0,1] op_sel_hi:[0,1,0] neg_lo:[0,1,0] neg_hi:[0,1,0]
	v_pk_mul_f16 v12, 0xb461, v39 op_sel_hi:[0,1]
	v_pk_add_f16 v7, v11, v7
	v_pk_fma_f16 v8, 0x3b29, v34, v8 op_sel:[0,0,1] op_sel_hi:[0,1,0]
	v_mul_f16_e32 v51, 0xbacd, v98
	v_add_f16_e32 v108, v140, v108
	v_fmac_f16_e32 v144, 0xb5c8, v36
	v_alignbit_b32 v10, v10, v2, 16
	v_pack_b32_f16 v2, v4, v2
	v_pk_add_f16 v3, v6, v3
	v_pk_fma_f16 v4, 0xbbb2, v36, v12 op_sel:[0,0,1] op_sel_hi:[0,1,0] neg_lo:[0,1,0] neg_hi:[0,1,0]
	v_pk_mul_f16 v6, 0x2de8, v58 op_sel_hi:[0,1]
	v_pk_add_f16 v7, v8, v7
	v_pk_fma_f16 v8, 0xbbb2, v36, v12 op_sel:[0,0,1] op_sel_hi:[0,1,0]
	v_add_f16_e32 v150, v170, v150
	v_fma_f16 v82, v58, 0x39e9, -v132
	v_add_f16_e32 v51, v99, v51
	v_fmac_f16_e32 v160, 0x3b29, v54
	v_add_f16_e32 v108, v144, v108
	v_fmac_f16_e32 v146, 0xba62, v54
	v_pk_add_f16 v3, v4, v3
	v_pk_fma_f16 v4, 0x3bf7, v54, v6 op_sel:[0,0,1] op_sel_hi:[0,1,0] neg_lo:[0,1,0] neg_hi:[0,1,0]
	v_pk_add_f16 v7, v8, v7
	v_pk_fma_f16 v6, 0x3bf7, v54, v6 op_sel:[0,0,1] op_sel_hi:[0,1,0]
	v_add_f16_e32 v150, v166, v150
	v_add_f16_e32 v65, v82, v65
	;; [unrolled: 1-line block ×5, first 2 shown]
	v_pk_add_f16 v3, v4, v3
	v_pk_add_f16 v4, v6, v7
	v_add_f16_e32 v150, v164, v150
	v_pack_b32_f16 v9, v9, v33
	v_pack_b32_f16 v11, v65, v79
	;; [unrolled: 1-line block ×4, first 2 shown]
	v_pk_add_f16 v0, v16, v0
	v_pack_b32_f16 v13, v100, v104
	ds_write2_b32 v1, v2, v10 offset0:1 offset1:2
	ds_write2_b32 v1, v9, v11 offset0:3 offset1:4
	;; [unrolled: 1-line block ×3, first 2 shown]
	ds_write2_b32 v1, v0, v13 offset1:7
	v_alignbit_b32 v0, v3, v4, 16
	v_alignbit_b32 v2, v4, v3, 16
	v_pack_b32_f16 v3, v147, v105
	v_pack_b32_f16 v4, v150, v162
	;; [unrolled: 1-line block ×4, first 2 shown]
	v_perm_b32 v7, v47, v21, 0x5040100
	v_perm_b32 v8, v31, v30, 0x5040100
	;; [unrolled: 1-line block ×3, first 2 shown]
	ds_write2_b32 v1, v2, v0 offset0:8 offset1:9
	ds_write2_b32 v1, v4, v3 offset0:10 offset1:11
	;; [unrolled: 1-line block ×4, first 2 shown]
	ds_write_b32 v1, v9 offset:64
.LBB0_7:
	s_or_b32 exec_lo, exec_lo, s4
	v_add_nc_u16 v0, v42, 0x55
	v_and_b32_e32 v1, 0xff, v42
	v_add_co_u32 v5, null, 0xff, v42
	v_mov_b32_e32 v10, 0xf0f1
	v_and_b32_e32 v2, 0xff, v0
	v_mul_lo_u16 v4, 0xf1, v1
	v_add_nc_u16 v1, v42, 0xaa
	v_add_co_u32 v6, null, 0x154, v42
	v_mul_lo_u16 v2, 0xf1, v2
	v_lshrrev_b16 v16, 12, v4
	v_and_b32_e32 v3, 0xff, v1
	v_add_co_u32 v7, null, 0x1a9, v42
	v_lshrrev_b16 v23, 12, v2
	v_mul_lo_u16 v8, v16, 17
	v_mul_lo_u16 v3, 0xf1, v3
	v_mul_u32_u24_sdwa v14, v7, v10 dst_sel:DWORD dst_unused:UNUSED_PAD src0_sel:WORD_0 src1_sel:DWORD
	v_mov_b32_e32 v11, 2
	v_mul_lo_u16 v9, v23, 17
	v_sub_nc_u16 v24, v42, v8
	v_mul_u32_u24_sdwa v8, v5, v10 dst_sel:DWORD dst_unused:UNUSED_PAD src0_sel:WORD_0 src1_sel:DWORD
	v_lshrrev_b16 v26, 12, v3
	v_lshrrev_b32_e32 v32, 20, v14
	v_sub_nc_u16 v25, v0, v9
	v_add_co_u32 v9, null, 0x1fe, v42
	v_lshrrev_b32_e32 v27, 20, v8
	v_mul_u32_u24_sdwa v8, v6, v10 dst_sel:DWORD dst_unused:UNUSED_PAD src0_sel:WORD_0 src1_sel:DWORD
	v_mul_lo_u16 v15, v26, 17
	v_mul_u32_u24_sdwa v10, v9, v10 dst_sel:DWORD dst_unused:UNUSED_PAD src0_sel:WORD_0 src1_sel:DWORD
	v_lshlrev_b32_sdwa v12, v11, v24 dst_sel:DWORD dst_unused:UNUSED_PAD src0_sel:DWORD src1_sel:BYTE_0
	v_mul_lo_u16 v17, v27, 17
	v_lshrrev_b32_e32 v28, 20, v8
	v_mul_lo_u16 v8, v32, 17
	v_lshrrev_b32_e32 v34, 20, v10
	v_lshlrev_b32_sdwa v13, v11, v25 dst_sel:DWORD dst_unused:UNUSED_PAD src0_sel:DWORD src1_sel:BYTE_0
	v_sub_nc_u16 v35, v5, v17
	v_mul_lo_u16 v5, v28, 17
	v_sub_nc_u16 v33, v1, v15
	v_mul_lo_u16 v10, v34, 17
	s_load_dwordx4 s[4:7], s[0:1], 0x0
	s_waitcnt lgkmcnt(0)
	v_sub_nc_u16 v36, v6, v5
	v_lshlrev_b32_sdwa v5, v11, v35 dst_sel:DWORD dst_unused:UNUSED_PAD src0_sel:DWORD src1_sel:WORD_0
	s_barrier
	buffer_gl0_inv
	s_clause 0x1
	global_load_dword v57, v12, s[2:3]
	global_load_dword v56, v13, s[2:3]
	v_sub_nc_u16 v37, v7, v8
	v_sub_nc_u16 v38, v9, v10
	global_load_dword v54, v5, s[2:3]
	v_lshlrev_b32_sdwa v12, v11, v33 dst_sel:DWORD dst_unused:UNUSED_PAD src0_sel:DWORD src1_sel:BYTE_0
	v_lshlrev_b32_sdwa v6, v11, v36 dst_sel:DWORD dst_unused:UNUSED_PAD src0_sel:DWORD src1_sel:WORD_0
	v_lshlrev_b32_sdwa v7, v11, v37 dst_sel:DWORD dst_unused:UNUSED_PAD src0_sel:DWORD src1_sel:WORD_0
	;; [unrolled: 1-line block ×3, first 2 shown]
	v_add_lshl_u32 v48, v29, v42, 2
	s_clause 0x3
	global_load_dword v55, v12, s[2:3]
	global_load_dword v53, v6, s[2:3]
	;; [unrolled: 1-line block ×4, first 2 shown]
	ds_read2_b32 v[6:7], v48 offset1:85
	ds_read2_b32 v[8:9], v48 offset0:170 offset1:255
	v_add_nc_u32_e32 v40, 0x600, v48
	v_add_nc_u32_e32 v5, 0x800, v48
	;; [unrolled: 1-line block ×3, first 2 shown]
	ds_read2_b32 v[10:11], v40 offset0:126 offset1:211
	ds_read2_b32 v[12:13], v5 offset0:168 offset1:253
	;; [unrolled: 1-line block ×3, first 2 shown]
	v_add_nc_u32_e32 v17, 0x400, v48
	v_add_nc_u32_e32 v44, 0xe00, v48
	v_mul_lo_u16 v49, v16, 34
	v_mov_b32_e32 v39, 34
	v_mad_u16 v27, v27, 34, v35
	ds_read2_b32 v[18:19], v17 offset0:84 offset1:169
	ds_read2_b32 v[16:17], v44 offset0:124 offset1:209
	v_and_b32_e32 v49, 0xfe, v49
	v_mul_u32_u24_sdwa v23, v23, v39 dst_sel:DWORD dst_unused:UNUSED_PAD src0_sel:WORD_0 src1_sel:DWORD
	v_mul_u32_u24_sdwa v26, v26, v39 dst_sel:DWORD dst_unused:UNUSED_PAD src0_sel:WORD_0 src1_sel:DWORD
	v_mad_u16 v28, v28, 34, v36
	v_mad_u16 v32, v32, 34, v37
	v_add_nc_u32_sdwa v24, v49, v24 dst_sel:DWORD dst_unused:UNUSED_PAD src0_sel:DWORD src1_sel:BYTE_0
	v_add_nc_u32_sdwa v23, v23, v25 dst_sel:DWORD dst_unused:UNUSED_PAD src0_sel:DWORD src1_sel:BYTE_0
	v_mad_u16 v34, v34, 34, v38
	v_and_b32_e32 v25, 0xffff, v27
	v_and_b32_e32 v27, 0xffff, v32
	s_waitcnt lgkmcnt(4)
	v_lshrrev_b32_e32 v35, 16, v11
	v_add_lshl_u32 v63, v29, v24, 2
	v_add_nc_u32_sdwa v24, v26, v33 dst_sel:DWORD dst_unused:UNUSED_PAD src0_sel:DWORD src1_sel:BYTE_0
	s_waitcnt lgkmcnt(3)
	v_lshrrev_b32_e32 v36, 16, v12
	v_add_lshl_u32 v64, v29, v23, 2
	v_lshrrev_b32_e32 v37, 16, v13
	v_and_b32_e32 v26, 0xffff, v28
	v_add_lshl_u32 v58, v29, v24, 2
	s_waitcnt lgkmcnt(2)
	v_lshrrev_b32_e32 v38, 16, v14
	v_and_b32_e32 v28, 0xffff, v34
	v_lshrrev_b32_e32 v68, 16, v15
	s_waitcnt lgkmcnt(0)
	v_lshrrev_b32_e32 v70, 16, v16
	v_lshrrev_b32_e32 v72, 16, v17
	;; [unrolled: 1-line block ×3, first 2 shown]
	v_add_lshl_u32 v59, v29, v25, 2
	v_add_lshl_u32 v60, v29, v26, 2
	;; [unrolled: 1-line block ×4, first 2 shown]
	v_lshrrev_b32_e32 v65, 16, v7
	v_lshrrev_b32_e32 v66, 16, v8
	;; [unrolled: 1-line block ×6, first 2 shown]
	s_waitcnt vmcnt(0)
	s_barrier
	buffer_gl0_inv
	v_add_nc_u32_e32 v50, 0x200, v48
	v_add_nc_u32_e32 v5, 0xa00, v48
	v_cmp_gt_u16_e64 s0, 0x44, v42
	v_mul_f16_sdwa v23, v35, v57 dst_sel:DWORD dst_unused:UNUSED_PAD src0_sel:DWORD src1_sel:WORD_1
	v_mul_f16_sdwa v24, v11, v57 dst_sel:DWORD dst_unused:UNUSED_PAD src0_sel:DWORD src1_sel:WORD_1
	;; [unrolled: 1-line block ×4, first 2 shown]
	v_fma_f16 v11, v11, v57, -v23
	v_fmac_f16_e32 v24, v35, v57
	v_mul_f16_sdwa v23, v36, v56 dst_sel:DWORD dst_unused:UNUSED_PAD src0_sel:DWORD src1_sel:WORD_1
	v_mul_f16_sdwa v32, v14, v54 dst_sel:DWORD dst_unused:UNUSED_PAD src0_sel:DWORD src1_sel:WORD_1
	;; [unrolled: 1-line block ×10, first 2 shown]
	v_fma_f16 v12, v12, v56, -v23
	v_fmac_f16_e32 v25, v36, v56
	v_sub_f16_e32 v11, v6, v11
	v_sub_f16_e32 v23, v39, v24
	v_fma_f16 v13, v13, v55, -v26
	v_fmac_f16_e32 v27, v37, v55
	v_fma_f16 v14, v14, v54, -v28
	v_fmac_f16_e32 v32, v38, v54
	;; [unrolled: 2-line block ×5, first 2 shown]
	v_fma_f16 v6, v6, 2.0, -v11
	v_fma_f16 v24, v39, 2.0, -v23
	v_sub_f16_e32 v26, v7, v12
	v_sub_f16_e32 v25, v65, v25
	;; [unrolled: 1-line block ×12, first 2 shown]
	v_pack_b32_f16 v11, v11, v23
	v_fma_f16 v7, v7, 2.0, -v26
	v_fma_f16 v23, v65, 2.0, -v25
	v_pack_b32_f16 v6, v6, v24
	v_fma_f16 v8, v8, 2.0, -v28
	v_fma_f16 v38, v66, 2.0, -v27
	;; [unrolled: 1-line block ×10, first 2 shown]
	v_pack_b32_f16 v10, v26, v25
	ds_write2_b32 v63, v6, v11 offset1:17
	v_pack_b32_f16 v6, v7, v23
	v_pack_b32_f16 v19, v28, v27
	;; [unrolled: 1-line block ×11, first 2 shown]
	ds_write2_b32 v64, v6, v10 offset1:17
	ds_write2_b32 v58, v7, v19 offset1:17
	;; [unrolled: 1-line block ×6, first 2 shown]
	s_waitcnt lgkmcnt(0)
	s_barrier
	buffer_gl0_inv
	ds_read2_b32 v[14:15], v48 offset1:85
	ds_read2_b32 v[27:28], v50 offset0:110 offset1:195
	ds_read2_b32 v[23:24], v40 offset0:92 offset1:177
	;; [unrolled: 1-line block ×4, first 2 shown]
	s_and_saveexec_b32 s1, s0
	s_cbranch_execz .LBB0_9
; %bb.8:
	v_add_nc_u32_e32 v6, 0x280, v48
	ds_read2_b32 v[16:17], v5 offset0:6 offset1:244
	ds_read2_b32 v[12:13], v6 offset0:10 offset1:248
	ds_read_b32 v30, v48 offset:4488
	s_waitcnt lgkmcnt(2)
	v_lshrrev_b32_e32 v35, 16, v16
	v_lshrrev_b32_e32 v33, 16, v17
	s_waitcnt lgkmcnt(1)
	v_lshrrev_b32_e32 v32, 16, v12
	v_lshrrev_b32_e32 v34, 16, v13
	s_waitcnt lgkmcnt(0)
	v_lshrrev_b32_e32 v31, 16, v30
.LBB0_9:
	s_or_b32 exec_lo, exec_lo, s1
	v_lshrrev_b16 v37, 13, v4
	v_lshrrev_b16 v38, 13, v2
	;; [unrolled: 1-line block ×3, first 2 shown]
	v_mov_b32_e32 v2, 4
	v_mov_b32_e32 v36, 0xaa
	v_mul_lo_u16 v4, v37, 34
	s_waitcnt lgkmcnt(3)
	v_lshrrev_b32_e32 v67, 16, v27
	s_waitcnt lgkmcnt(2)
	v_lshrrev_b32_e32 v68, 16, v23
	;; [unrolled: 2-line block ×4, first 2 shown]
	v_sub_nc_u16 v39, v42, v4
	v_mul_lo_u16 v4, v38, 34
	v_mul_u32_u24_sdwa v37, v37, v36 dst_sel:DWORD dst_unused:UNUSED_PAD src0_sel:WORD_0 src1_sel:DWORD
	v_mul_u32_u24_sdwa v38, v38, v36 dst_sel:DWORD dst_unused:UNUSED_PAD src0_sel:WORD_0 src1_sel:DWORD
	v_lshrrev_b32_e32 v72, 16, v28
	v_lshlrev_b32_sdwa v5, v2, v39 dst_sel:DWORD dst_unused:UNUSED_PAD src0_sel:DWORD src1_sel:BYTE_0
	v_sub_nc_u16 v40, v0, v4
	v_mul_lo_u16 v0, v49, 34
	v_lshrrev_b32_e32 v73, 16, v24
	v_lshrrev_b32_e32 v74, 16, v19
	global_load_dwordx4 v[8:11], v5, s[2:3] offset:68
	v_lshlrev_b32_sdwa v3, v2, v40 dst_sel:DWORD dst_unused:UNUSED_PAD src0_sel:DWORD src1_sel:BYTE_0
	v_sub_nc_u16 v50, v1, v0
	v_lshrrev_b32_e32 v75, 16, v26
	v_add_nc_u32_sdwa v37, v37, v39 dst_sel:DWORD dst_unused:UNUSED_PAD src0_sel:DWORD src1_sel:BYTE_0
	v_add_nc_u32_sdwa v38, v38, v40 dst_sel:DWORD dst_unused:UNUSED_PAD src0_sel:DWORD src1_sel:BYTE_0
	global_load_dwordx4 v[4:7], v3, s[2:3] offset:68
	v_lshlrev_b32_sdwa v0, v2, v50 dst_sel:DWORD dst_unused:UNUSED_PAD src0_sel:DWORD src1_sel:BYTE_0
	v_lshrrev_b32_e32 v44, 16, v14
	v_add_lshl_u32 v66, v29, v37, 2
	v_add_lshl_u32 v65, v29, v38, 2
	v_lshrrev_b32_e32 v71, 16, v15
	global_load_dwordx4 v[0:3], v0, s[2:3] offset:68
	s_waitcnt vmcnt(0)
	s_barrier
	buffer_gl0_inv
	v_mul_f16_sdwa v76, v67, v8 dst_sel:DWORD dst_unused:UNUSED_PAD src0_sel:DWORD src1_sel:WORD_1
	v_mul_f16_sdwa v77, v27, v8 dst_sel:DWORD dst_unused:UNUSED_PAD src0_sel:DWORD src1_sel:WORD_1
	;; [unrolled: 1-line block ×21, first 2 shown]
	v_fma_f16 v27, v27, v8, -v76
	v_fmac_f16_e32 v77, v67, v8
	v_fma_f16 v67, v23, v9, -v78
	v_fmac_f16_e32 v79, v68, v9
	;; [unrolled: 2-line block ×4, first 2 shown]
	v_mul_f16_sdwa v92, v34, v0 dst_sel:DWORD dst_unused:UNUSED_PAD src0_sel:DWORD src1_sel:WORD_1
	v_mul_f16_sdwa v95, v31, v3 dst_sel:DWORD dst_unused:UNUSED_PAD src0_sel:DWORD src1_sel:WORD_1
	v_fma_f16 v23, v28, v4, -v84
	v_fmac_f16_e32 v85, v72, v4
	v_fma_f16 v25, v24, v5, -v86
	v_fmac_f16_e32 v87, v73, v5
	;; [unrolled: 2-line block ×4, first 2 shown]
	v_mul_f16_sdwa v40, v13, v0 dst_sel:DWORD dst_unused:UNUSED_PAD src0_sel:DWORD src1_sel:WORD_1
	v_fma_f16 v18, v16, v1, -v93
	v_fmac_f16_e32 v39, v35, v1
	v_fma_f16 v16, v17, v2, -v94
	v_fmac_f16_e32 v38, v33, v2
	v_fmac_f16_e32 v37, v31, v3
	v_add_f16_e32 v31, v67, v68
	v_sub_f16_e32 v35, v27, v67
	v_sub_f16_e32 v72, v69, v68
	v_add_f16_e32 v73, v27, v69
	v_sub_f16_e32 v74, v67, v27
	v_sub_f16_e32 v75, v68, v69
	v_add_f16_e32 v76, v44, v77
	v_add_f16_e32 v78, v79, v81
	v_add_f16_e32 v86, v77, v83
	v_fma_f16 v19, v13, v0, -v92
	v_fma_f16 v13, v30, v3, -v95
	v_add_f16_e32 v30, v14, v27
	v_sub_f16_e32 v33, v77, v83
	v_sub_f16_e32 v80, v27, v69
	;; [unrolled: 1-line block ×5, first 2 shown]
	v_add_f16_e32 v92, v25, v28
	v_add_f16_e32 v100, v71, v85
	;; [unrolled: 1-line block ×5, first 2 shown]
	v_fmac_f16_e32 v40, v34, v0
	v_add_f16_e32 v90, v15, v23
	v_add_f16_e32 v108, v18, v16
	;; [unrolled: 1-line block ×3, first 2 shown]
	v_fma_f16 v31, -0.5, v31, v14
	v_add_f16_e32 v35, v35, v72
	v_fma_f16 v72, -0.5, v73, v14
	v_add_f16_e32 v73, v74, v75
	v_add_f16_e32 v74, v76, v79
	v_fma_f16 v75, -0.5, v78, v44
	v_sub_f16_e32 v34, v79, v81
	v_sub_f16_e32 v82, v67, v68
	;; [unrolled: 1-line block ×5, first 2 shown]
	v_fmac_f16_e32 v44, -0.5, v86
	v_sub_f16_e32 v93, v85, v91
	v_sub_f16_e32 v94, v87, v89
	;; [unrolled: 1-line block ×5, first 2 shown]
	v_add_f16_e32 v77, v77, v88
	v_fma_f16 v79, -0.5, v92, v15
	v_add_f16_e32 v87, v100, v87
	v_fma_f16 v88, -0.5, v101, v71
	v_sub_f16_e32 v98, v25, v23
	v_sub_f16_e32 v99, v28, v70
	;; [unrolled: 1-line block ×3, first 2 shown]
	v_fmac_f16_e32 v15, -0.5, v97
	v_fmac_f16_e32 v71, -0.5, v106
	v_sub_f16_e32 v17, v40, v37
	v_sub_f16_e32 v24, v19, v13
	v_add_f16_e32 v67, v30, v67
	v_add_f16_e32 v78, v90, v25
	v_fma_f16 v14, -0.5, v108, v12
	v_fma_f16 v25, -0.5, v111, v32
	v_fmamk_f16 v92, v33, 0x3b9c, v31
	v_add_f16_e32 v74, v74, v81
	v_fmamk_f16 v81, v80, 0xbb9c, v75
	v_add_f16_e32 v76, v27, v84
	v_add_f16_e32 v84, v95, v96
	v_fmamk_f16 v95, v34, 0xbb9c, v72
	v_fmac_f16_e32 v72, 0x3b9c, v34
	v_fmamk_f16 v96, v82, 0x3b9c, v44
	v_fmac_f16_e32 v44, 0xbb9c, v82
	v_fmac_f16_e32 v31, 0xbb9c, v33
	;; [unrolled: 1-line block ×3, first 2 shown]
	v_sub_f16_e32 v105, v91, v89
	v_sub_f16_e32 v107, v89, v91
	v_fmamk_f16 v97, v93, 0x3b9c, v79
	v_add_f16_e32 v87, v87, v89
	v_fmamk_f16 v89, v102, 0xbb9c, v88
	v_add_f16_e32 v86, v98, v99
	v_fmamk_f16 v98, v94, 0xbb9c, v15
	v_fmac_f16_e32 v15, 0x3b9c, v94
	v_fmamk_f16 v99, v103, 0x3b9c, v71
	v_fmac_f16_e32 v71, 0xbb9c, v103
	v_sub_f16_e32 v23, v39, v38
	v_sub_f16_e32 v109, v19, v18
	;; [unrolled: 1-line block ×6, first 2 shown]
	v_add_f16_e32 v68, v67, v68
	v_add_f16_e32 v78, v78, v28
	v_fmac_f16_e32 v79, 0xbb9c, v93
	v_fmac_f16_e32 v88, 0x3b9c, v102
	v_fmamk_f16 v28, v17, 0xbb9c, v14
	v_fmamk_f16 v67, v24, 0x3b9c, v25
	v_fmac_f16_e32 v92, 0x38b4, v34
	v_fmac_f16_e32 v81, 0xb8b4, v82
	;; [unrolled: 1-line block ×8, first 2 shown]
	v_add_f16_e32 v90, v104, v105
	v_fmac_f16_e32 v97, 0x38b4, v94
	v_fmac_f16_e32 v89, 0xb8b4, v103
	v_add_f16_e32 v85, v85, v107
	v_fmac_f16_e32 v98, 0x38b4, v93
	v_fmac_f16_e32 v15, 0xb8b4, v93
	;; [unrolled: 1-line block ×4, first 2 shown]
	v_add_f16_e32 v30, v109, v110
	v_add_f16_e32 v27, v112, v113
	;; [unrolled: 1-line block ×4, first 2 shown]
	v_fmac_f16_e32 v79, 0xb8b4, v94
	v_fmac_f16_e32 v88, 0x38b4, v103
	v_fmac_f16_e32 v28, 0xb8b4, v23
	v_fmac_f16_e32 v67, 0x38b4, v26
	v_fmac_f16_e32 v92, 0x34f2, v35
	v_fmac_f16_e32 v81, 0x34f2, v76
	v_fmac_f16_e32 v95, 0x34f2, v73
	v_fmac_f16_e32 v72, 0x34f2, v73
	v_fmac_f16_e32 v96, 0x34f2, v77
	v_fmac_f16_e32 v44, 0x34f2, v77
	v_fmac_f16_e32 v31, 0x34f2, v35
	v_fmac_f16_e32 v75, 0x34f2, v76
	v_add_f16_e32 v34, v78, v70
	v_add_f16_e32 v69, v87, v91
	v_fmac_f16_e32 v97, 0x34f2, v84
	v_fmac_f16_e32 v89, 0x34f2, v90
	;; [unrolled: 1-line block ×10, first 2 shown]
	v_pack_b32_f16 v33, v68, v33
	v_pack_b32_f16 v35, v92, v81
	;; [unrolled: 1-line block ×10, first 2 shown]
	ds_write2_b32 v66, v33, v35 offset1:34
	ds_write2_b32 v66, v68, v44 offset0:68 offset1:102
	ds_write_b32 v66, v31 offset:544
	ds_write2_b32 v65, v34, v69 offset1:34
	ds_write2_b32 v65, v70, v15 offset0:68 offset1:102
	ds_write_b32 v65, v71 offset:544
	s_and_saveexec_b32 s1, s0
	s_cbranch_execz .LBB0_11
; %bb.10:
	v_add_f16_e32 v15, v40, v37
	v_add_f16_e32 v44, v19, v13
	v_mul_f16_e32 v31, 0x3b9c, v17
	v_mul_f16_e32 v34, 0x3b9c, v24
	;; [unrolled: 1-line block ×3, first 2 shown]
	v_fma_f16 v15, -0.5, v15, v32
	v_fma_f16 v44, -0.5, v44, v12
	v_add_f16_e32 v12, v12, v19
	v_mul_f16_e32 v35, 0x38b4, v26
	v_sub_f16_e32 v71, v18, v19
	v_fmamk_f16 v70, v26, 0xbb9c, v15
	v_fmac_f16_e32 v15, 0x3b9c, v26
	v_fmamk_f16 v26, v23, 0x3b9c, v44
	v_fmac_f16_e32 v44, 0xbb9c, v23
	v_sub_f16_e32 v19, v25, v34
	v_fmac_f16_e32 v70, 0x38b4, v24
	v_fmac_f16_e32 v15, 0xb8b4, v24
	v_add_f16_e32 v24, v32, v40
	v_add_f16_e32 v12, v12, v18
	;; [unrolled: 1-line block ×3, first 2 shown]
	v_sub_f16_e32 v68, v39, v40
	v_sub_f16_e32 v69, v38, v37
	v_add_f16_e32 v23, v24, v39
	v_sub_f16_e32 v72, v16, v13
	v_mul_f16_e32 v30, 0x34f2, v30
	v_mul_f16_e32 v27, 0x34f2, v27
	v_fmac_f16_e32 v26, 0xb8b4, v17
	v_fmac_f16_e32 v44, 0x38b4, v17
	v_sub_f16_e32 v17, v19, v35
	v_add_f16_e32 v18, v23, v38
	v_mul_u32_u24_sdwa v19, v49, v36 dst_sel:DWORD dst_unused:UNUSED_PAD src0_sel:WORD_0 src1_sel:DWORD
	v_add_f16_e32 v12, v12, v16
	v_add_f16_e32 v14, v33, v14
	;; [unrolled: 1-line block ×6, first 2 shown]
	v_add_nc_u32_sdwa v18, v19, v50 dst_sel:DWORD dst_unused:UNUSED_PAD src0_sel:DWORD src1_sel:BYTE_0
	v_add_f16_e32 v12, v12, v13
	v_add_f16_e32 v13, v30, v14
	v_fmac_f16_e32 v70, 0x34f2, v68
	v_fmac_f16_e32 v15, 0x34f2, v68
	;; [unrolled: 1-line block ×4, first 2 shown]
	v_add_lshl_u32 v14, v29, v18, 2
	v_pack_b32_f16 v12, v12, v17
	v_pack_b32_f16 v13, v13, v16
	v_pack_b32_f16 v15, v44, v15
	v_pack_b32_f16 v16, v26, v70
	v_perm_b32 v17, v67, v28, 0x5040100
	ds_write2_b32 v14, v12, v13 offset1:34
	ds_write2_b32 v14, v15, v16 offset0:68 offset1:102
	ds_write_b32 v14, v17 offset:544
.LBB0_11:
	s_or_b32 exec_lo, exec_lo, s1
	v_mad_u64_u32 v[12:13], null, v42, 24, s[2:3]
	s_waitcnt lgkmcnt(0)
	s_barrier
	buffer_gl0_inv
	v_add_nc_u32_e32 v27, 0x400, v48
	v_add_nc_u32_e32 v33, 0x600, v48
	;; [unrolled: 1-line block ×3, first 2 shown]
	v_add_co_u32 v25, s1, 0x7f8, v12
	s_clause 0x1
	global_load_dwordx4 v[16:19], v[12:13], off offset:612
	global_load_dwordx2 v[23:24], v[12:13], off offset:628
	v_add_co_ci_u32_e64 v26, s1, 0, v13, s1
	v_add_nc_u32_e32 v37, 0xc00, v48
	v_add_nc_u32_e32 v39, 0xe00, v48
	s_clause 0x1
	global_load_dwordx4 v[12:15], v[25:26], off offset:612
	global_load_dwordx2 v[25:26], v[25:26], off offset:628
	ds_read2_b32 v[29:30], v48 offset0:170 offset1:255
	ds_read2_b32 v[31:32], v27 offset0:84 offset1:169
	;; [unrolled: 1-line block ×6, first 2 shown]
	ds_read2_b32 v[72:73], v48 offset1:85
	v_lshl_add_u32 v44, v42, 2, v43
	v_add_nc_u32_e32 v69, 0x200, v44
	v_add_nc_u32_e32 v71, 0x400, v44
	;; [unrolled: 1-line block ×5, first 2 shown]
	s_waitcnt lgkmcnt(5)
	v_lshrrev_b32_e32 v70, 16, v31
	s_waitcnt lgkmcnt(4)
	v_lshrrev_b32_e32 v74, 16, v33
	;; [unrolled: 2-line block ×3, first 2 shown]
	v_lshrrev_b32_e32 v27, 16, v29
	s_waitcnt lgkmcnt(2)
	v_lshrrev_b32_e32 v76, 16, v37
	s_waitcnt lgkmcnt(1)
	v_lshrrev_b32_e32 v77, 16, v39
	v_lshrrev_b32_e32 v68, 16, v30
	;; [unrolled: 1-line block ×7, first 2 shown]
	s_waitcnt vmcnt(3)
	v_mul_f16_sdwa v83, v27, v16 dst_sel:DWORD dst_unused:UNUSED_PAD src0_sel:DWORD src1_sel:WORD_1
	v_mul_f16_sdwa v84, v29, v16 dst_sel:DWORD dst_unused:UNUSED_PAD src0_sel:DWORD src1_sel:WORD_1
	;; [unrolled: 1-line block ×8, first 2 shown]
	s_waitcnt vmcnt(2)
	v_mul_f16_sdwa v94, v76, v23 dst_sel:DWORD dst_unused:UNUSED_PAD src0_sel:DWORD src1_sel:WORD_1
	v_mul_f16_sdwa v95, v37, v23 dst_sel:DWORD dst_unused:UNUSED_PAD src0_sel:DWORD src1_sel:WORD_1
	;; [unrolled: 1-line block ×4, first 2 shown]
	v_fma_f16 v29, v29, v16, -v83
	v_fmac_f16_e32 v84, v27, v16
	v_fma_f16 v27, v31, v17, -v88
	v_fmac_f16_e32 v89, v70, v17
	;; [unrolled: 2-line block ×6, first 2 shown]
	s_waitcnt vmcnt(1)
	v_mul_f16_sdwa v39, v68, v12 dst_sel:DWORD dst_unused:UNUSED_PAD src0_sel:DWORD src1_sel:WORD_1
	v_mul_f16_sdwa v70, v30, v12 dst_sel:DWORD dst_unused:UNUSED_PAD src0_sel:DWORD src1_sel:WORD_1
	;; [unrolled: 1-line block ×5, first 2 shown]
	s_waitcnt vmcnt(0)
	v_mul_f16_sdwa v90, v81, v25 dst_sel:DWORD dst_unused:UNUSED_PAD src0_sel:DWORD src1_sel:WORD_1
	v_mul_f16_sdwa v92, v38, v25 dst_sel:DWORD dst_unused:UNUSED_PAD src0_sel:DWORD src1_sel:WORD_1
	;; [unrolled: 1-line block ×7, first 2 shown]
	v_fma_f16 v30, v30, v12, -v39
	v_fmac_f16_e32 v70, v68, v12
	v_fma_f16 v32, v32, v13, -v74
	v_fmac_f16_e32 v75, v78, v13
	v_fma_f16 v34, v34, v14, -v76
	v_fma_f16 v38, v38, v25, -v90
	v_fmac_f16_e32 v92, v81, v25
	v_fma_f16 v39, v40, v26, -v94
	v_fmac_f16_e32 v96, v82, v26
	v_add_f16_e32 v40, v29, v37
	v_add_f16_e32 v68, v84, v97
	v_sub_f16_e32 v29, v29, v37
	v_add_f16_e32 v74, v27, v35
	v_add_f16_e32 v76, v89, v95
	v_sub_f16_e32 v27, v27, v35
	v_sub_f16_e32 v35, v89, v95
	v_add_f16_e32 v78, v31, v33
	v_sub_f16_e32 v31, v33, v31
	v_sub_f16_e32 v33, v93, v91
	v_fmac_f16_e32 v77, v79, v14
	v_fma_f16 v36, v36, v15, -v83
	v_fmac_f16_e32 v88, v80, v15
	v_sub_f16_e32 v37, v84, v97
	v_add_f16_e32 v79, v91, v93
	v_add_f16_e32 v80, v74, v40
	;; [unrolled: 1-line block ×5, first 2 shown]
	v_sub_f16_e32 v90, v31, v27
	v_sub_f16_e32 v91, v33, v35
	;; [unrolled: 1-line block ×3, first 2 shown]
	v_add_f16_e32 v93, v30, v39
	v_add_f16_e32 v94, v70, v96
	v_sub_f16_e32 v30, v30, v39
	v_sub_f16_e32 v39, v70, v96
	v_add_f16_e32 v70, v32, v38
	v_add_f16_e32 v95, v75, v92
	v_sub_f16_e32 v82, v74, v40
	v_sub_f16_e32 v83, v76, v68
	;; [unrolled: 1-line block ×11, first 2 shown]
	v_add_f16_e32 v75, v34, v36
	v_add_f16_e32 v92, v77, v88
	v_sub_f16_e32 v34, v36, v34
	v_sub_f16_e32 v36, v88, v77
	v_add_f16_e32 v77, v78, v80
	v_add_f16_e32 v78, v79, v81
	v_add_f16_e32 v29, v84, v29
	v_add_f16_e32 v37, v89, v37
	v_mul_f16_e32 v84, 0xb846, v90
	v_mul_f16_e32 v88, 0xb846, v91
	;; [unrolled: 1-line block ×3, first 2 shown]
	v_add_f16_e32 v91, v70, v93
	v_add_f16_e32 v96, v95, v94
	v_mul_f16_e32 v40, 0x3a52, v40
	v_mul_f16_e32 v79, 0x3a52, v68
	;; [unrolled: 1-line block ×5, first 2 shown]
	v_sub_f16_e32 v97, v70, v93
	v_sub_f16_e32 v98, v95, v94
	;; [unrolled: 1-line block ×6, first 2 shown]
	v_add_f16_e32 v100, v34, v32
	v_add_f16_e32 v101, v36, v38
	v_sub_f16_e32 v102, v34, v32
	v_sub_f16_e32 v103, v36, v38
	;; [unrolled: 1-line block ×4, first 2 shown]
	s_waitcnt lgkmcnt(0)
	v_add_f16_e32 v68, v72, v77
	v_add_f16_sdwa v70, v72, v78 dst_sel:DWORD dst_unused:UNUSED_PAD src0_sel:WORD_1 src1_sel:DWORD
	v_fmamk_f16 v104, v31, 0x3574, v84
	v_fmamk_f16 v105, v33, 0x3574, v88
	v_fma_f16 v27, v27, 0x3b00, -v84
	v_fma_f16 v88, v35, 0x3b00, -v88
	;; [unrolled: 1-line block ×3, first 2 shown]
	v_add_f16_e32 v31, v75, v91
	v_add_f16_e32 v35, v92, v96
	v_sub_f16_e32 v34, v30, v34
	v_sub_f16_e32 v36, v39, v36
	v_fmamk_f16 v74, v74, 0x2b26, v40
	v_fmamk_f16 v76, v76, 0x2b26, v79
	v_fma_f16 v80, v82, 0x39e0, -v80
	v_fma_f16 v81, v83, 0x39e0, -v81
	v_fma_f16 v40, v82, 0xb9e0, -v40
	v_fma_f16 v79, v83, 0xb9e0, -v79
	v_fma_f16 v33, v33, 0xb574, -v90
	v_mul_f16_e32 v75, 0x3a52, v93
	v_mul_f16_e32 v82, 0x3a52, v94
	;; [unrolled: 1-line block ×8, first 2 shown]
	v_fmamk_f16 v77, v77, 0xbcab, v68
	v_fmamk_f16 v78, v78, 0xbcab, v70
	v_fmac_f16_e32 v104, 0x370e, v29
	v_fmac_f16_e32 v27, 0x370e, v29
	;; [unrolled: 1-line block ×3, first 2 shown]
	v_add_f16_e32 v29, v73, v31
	v_add_f16_sdwa v72, v73, v35 dst_sel:DWORD dst_unused:UNUSED_PAD src0_sel:WORD_1 src1_sel:DWORD
	v_add_f16_e32 v30, v100, v30
	v_add_f16_e32 v39, v101, v39
	v_fmac_f16_e32 v105, 0x370e, v37
	v_fmac_f16_e32 v88, 0x370e, v37
	;; [unrolled: 1-line block ×3, first 2 shown]
	v_fmamk_f16 v73, v99, 0x2b26, v75
	v_fmamk_f16 v94, v95, 0x2b26, v82
	v_fma_f16 v95, v97, 0x39e0, -v83
	v_fma_f16 v96, v98, 0x39e0, -v84
	;; [unrolled: 1-line block ×4, first 2 shown]
	v_fmamk_f16 v98, v34, 0x3574, v90
	v_fmamk_f16 v99, v36, 0x3574, v91
	v_fma_f16 v91, v38, 0x3b00, -v91
	v_fma_f16 v92, v34, 0xb574, -v92
	;; [unrolled: 1-line block ×3, first 2 shown]
	v_add_f16_e32 v34, v74, v77
	v_add_f16_e32 v74, v76, v78
	;; [unrolled: 1-line block ×5, first 2 shown]
	v_fmamk_f16 v76, v31, 0xbcab, v29
	v_fmamk_f16 v77, v35, 0xbcab, v72
	v_add_f16_e32 v40, v79, v78
	v_fma_f16 v90, v32, 0x3b00, -v90
	v_pack_b32_f16 v32, v68, v70
	v_fmac_f16_e32 v98, 0x370e, v30
	v_fmac_f16_e32 v99, 0x370e, v39
	v_add_f16_e32 v31, v105, v34
	v_sub_f16_e32 v84, v74, v104
	v_add_f16_e32 v82, v27, v37
	v_sub_f16_e32 v81, v37, v27
	v_add_f16_e32 v27, v73, v76
	v_add_f16_e32 v73, v94, v77
	v_fmac_f16_e32 v92, 0x370e, v30
	v_fmac_f16_e32 v93, 0x370e, v39
	v_sub_f16_e32 v83, v40, v89
	v_add_f16_e32 v80, v89, v40
	v_add_f16_e32 v79, v104, v74
	;; [unrolled: 1-line block ×4, first 2 shown]
	v_fmac_f16_e32 v90, 0x370e, v30
	v_fmac_f16_e32 v91, 0x370e, v39
	v_add_f16_e32 v39, v95, v76
	v_add_f16_e32 v75, v96, v77
	ds_write_b32 v44, v32
	v_pack_b32_f16 v100, v29, v72
	v_add_f16_e32 v32, v33, v38
	v_sub_f16_e32 v35, v36, v88
	v_add_f16_e32 v36, v88, v36
	v_add_f16_e32 v30, v99, v27
	v_sub_f16_e32 v78, v73, v98
	v_pack_b32_f16 v88, v31, v84
	v_sub_f16_e32 v37, v38, v33
	v_add_f16_e32 v33, v93, v40
	v_sub_f16_e32 v77, v74, v92
	v_sub_f16_e32 v38, v34, v105
	;; [unrolled: 1-line block ×3, first 2 shown]
	v_add_f16_e32 v76, v90, v75
	v_add_f16_e32 v39, v91, v39
	v_sub_f16_e32 v75, v75, v90
	v_sub_f16_e32 v40, v40, v93
	v_add_f16_e32 v74, v92, v74
	v_sub_f16_e32 v27, v27, v99
	v_add_f16_e32 v73, v98, v73
	v_pack_b32_f16 v89, v32, v83
	ds_write2_b32 v44, v100, v88 offset0:85 offset1:170
	v_pack_b32_f16 v88, v30, v78
	v_pack_b32_f16 v90, v35, v82
	;; [unrolled: 1-line block ×10, first 2 shown]
	ds_write2_b32 v69, v88, v89 offset0:127 offset1:212
	ds_write2_b32 v71, v94, v90 offset0:169 offset1:254
	;; [unrolled: 1-line block ×5, first 2 shown]
	ds_write_b32 v44, v98 offset:4420
	s_waitcnt lgkmcnt(0)
	s_barrier
	buffer_gl0_inv
	s_and_saveexec_b32 s2, vcc_lo
	s_cbranch_execz .LBB0_13
; %bb.12:
	v_add_co_u32 v91, s1, s8, v41
	v_add_co_ci_u32_e64 v92, null, s9, 0, s1
	v_add_nc_u32_e32 v119, 0x600, v44
	v_add_co_u32 v87, s1, 0x1000, v91
	v_add_co_ci_u32_e64 v88, s1, 0, v92, s1
	v_add_nc_u32_e32 v120, 0x1000, v44
	global_load_dword v93, v[87:88], off offset:664
	v_add_co_u32 v87, s1, 0x1298, v91
	v_add_co_ci_u32_e64 v88, s1, 0, v92, s1
	v_add_co_u32 v89, s1, 0x1800, v91
	v_add_co_ci_u32_e64 v90, s1, 0, v92, s1
	s_clause 0x9
	global_load_dword v103, v[87:88], off offset:280
	global_load_dword v104, v[87:88], off offset:560
	;; [unrolled: 1-line block ×10, first 2 shown]
	v_add_co_u32 v87, s1, 0x2000, v91
	v_add_co_ci_u32_e64 v88, s1, 0, v92, s1
	s_clause 0x5
	global_load_dword v113, v[89:90], off offset:1696
	global_load_dword v114, v[89:90], off offset:1976
	;; [unrolled: 1-line block ×6, first 2 shown]
	ds_read_b32 v87, v44
	s_waitcnt lgkmcnt(0)
	v_lshrrev_b32_e32 v88, 16, v87
	s_waitcnt vmcnt(16)
	v_mul_f16_sdwa v89, v88, v93 dst_sel:DWORD dst_unused:UNUSED_PAD src0_sel:DWORD src1_sel:WORD_1
	v_mul_f16_sdwa v90, v87, v93 dst_sel:DWORD dst_unused:UNUSED_PAD src0_sel:DWORD src1_sel:WORD_1
	v_fma_f16 v87, v87, v93, -v89
	v_fmac_f16_e32 v90, v88, v93
	v_pack_b32_f16 v87, v87, v90
	ds_write_b32 v44, v87
	ds_read2_b32 v[87:88], v44 offset0:70 offset1:140
	ds_read2_b32 v[89:90], v69 offset0:82 offset1:152
	;; [unrolled: 1-line block ×8, first 2 shown]
	s_waitcnt lgkmcnt(3)
	v_lshrrev_b32_e32 v137, 16, v95
	v_lshrrev_b32_e32 v121, 16, v87
	s_waitcnt vmcnt(15)
	v_mul_f16_sdwa v122, v87, v103 dst_sel:DWORD dst_unused:UNUSED_PAD src0_sel:DWORD src1_sel:WORD_1
	v_lshrrev_b32_e32 v123, 16, v88
	s_waitcnt vmcnt(14)
	v_mul_f16_sdwa v124, v88, v104 dst_sel:DWORD dst_unused:UNUSED_PAD src0_sel:DWORD src1_sel:WORD_1
	v_lshrrev_b32_e32 v125, 16, v89
	s_waitcnt vmcnt(13)
	v_mul_f16_sdwa v126, v89, v105 dst_sel:DWORD dst_unused:UNUSED_PAD src0_sel:DWORD src1_sel:WORD_1
	v_lshrrev_b32_e32 v127, 16, v90
	s_waitcnt vmcnt(12)
	v_mul_f16_sdwa v128, v90, v106 dst_sel:DWORD dst_unused:UNUSED_PAD src0_sel:DWORD src1_sel:WORD_1
	v_lshrrev_b32_e32 v129, 16, v91
	s_waitcnt vmcnt(11)
	v_mul_f16_sdwa v130, v91, v107 dst_sel:DWORD dst_unused:UNUSED_PAD src0_sel:DWORD src1_sel:WORD_1
	v_lshrrev_b32_e32 v131, 16, v92
	s_waitcnt vmcnt(10)
	v_mul_f16_sdwa v132, v92, v108 dst_sel:DWORD dst_unused:UNUSED_PAD src0_sel:DWORD src1_sel:WORD_1
	v_lshrrev_b32_e32 v133, 16, v93
	s_waitcnt vmcnt(9)
	v_mul_f16_sdwa v134, v93, v109 dst_sel:DWORD dst_unused:UNUSED_PAD src0_sel:DWORD src1_sel:WORD_1
	v_lshrrev_b32_e32 v135, 16, v94
	s_waitcnt vmcnt(8)
	v_mul_f16_sdwa v136, v94, v110 dst_sel:DWORD dst_unused:UNUSED_PAD src0_sel:DWORD src1_sel:WORD_1
	s_waitcnt vmcnt(7)
	v_mul_f16_sdwa v138, v95, v111 dst_sel:DWORD dst_unused:UNUSED_PAD src0_sel:DWORD src1_sel:WORD_1
	v_lshrrev_b32_e32 v139, 16, v96
	s_waitcnt vmcnt(6)
	v_mul_f16_sdwa v140, v96, v112 dst_sel:DWORD dst_unused:UNUSED_PAD src0_sel:DWORD src1_sel:WORD_1
	s_waitcnt lgkmcnt(2)
	v_lshrrev_b32_e32 v141, 16, v97
	s_waitcnt vmcnt(5)
	v_mul_f16_sdwa v142, v97, v113 dst_sel:DWORD dst_unused:UNUSED_PAD src0_sel:DWORD src1_sel:WORD_1
	v_lshrrev_b32_e32 v143, 16, v98
	s_waitcnt vmcnt(4)
	v_mul_f16_sdwa v144, v98, v114 dst_sel:DWORD dst_unused:UNUSED_PAD src0_sel:DWORD src1_sel:WORD_1
	s_waitcnt lgkmcnt(1)
	v_lshrrev_b32_e32 v145, 16, v99
	s_waitcnt vmcnt(3)
	v_mul_f16_sdwa v146, v99, v115 dst_sel:DWORD dst_unused:UNUSED_PAD src0_sel:DWORD src1_sel:WORD_1
	v_lshrrev_b32_e32 v147, 16, v100
	s_waitcnt vmcnt(2)
	v_mul_f16_sdwa v148, v100, v116 dst_sel:DWORD dst_unused:UNUSED_PAD src0_sel:DWORD src1_sel:WORD_1
	s_waitcnt lgkmcnt(0)
	v_lshrrev_b32_e32 v149, 16, v101
	s_waitcnt vmcnt(1)
	v_mul_f16_sdwa v150, v101, v117 dst_sel:DWORD dst_unused:UNUSED_PAD src0_sel:DWORD src1_sel:WORD_1
	v_lshrrev_b32_e32 v151, 16, v102
	v_mul_f16_sdwa v153, v121, v103 dst_sel:DWORD dst_unused:UNUSED_PAD src0_sel:DWORD src1_sel:WORD_1
	v_fmac_f16_e32 v122, v121, v103
	v_mul_f16_sdwa v121, v123, v104 dst_sel:DWORD dst_unused:UNUSED_PAD src0_sel:DWORD src1_sel:WORD_1
	v_fmac_f16_e32 v124, v123, v104
	;; [unrolled: 2-line block ×9, first 2 shown]
	v_mul_f16_sdwa v137, v139, v112 dst_sel:DWORD dst_unused:UNUSED_PAD src0_sel:DWORD src1_sel:WORD_1
	s_waitcnt vmcnt(0)
	v_mul_f16_sdwa v152, v102, v118 dst_sel:DWORD dst_unused:UNUSED_PAD src0_sel:DWORD src1_sel:WORD_1
	v_fmac_f16_e32 v140, v139, v112
	v_mul_f16_sdwa v139, v141, v113 dst_sel:DWORD dst_unused:UNUSED_PAD src0_sel:DWORD src1_sel:WORD_1
	v_fmac_f16_e32 v142, v141, v113
	;; [unrolled: 2-line block ×6, first 2 shown]
	v_mul_f16_sdwa v149, v151, v118 dst_sel:DWORD dst_unused:UNUSED_PAD src0_sel:DWORD src1_sel:WORD_1
	v_fma_f16 v87, v87, v103, -v153
	v_fma_f16 v88, v88, v104, -v121
	;; [unrolled: 1-line block ×10, first 2 shown]
	v_fmac_f16_e32 v152, v151, v118
	v_fma_f16 v97, v97, v113, -v139
	v_fma_f16 v98, v98, v114, -v141
	;; [unrolled: 1-line block ×6, first 2 shown]
	v_pack_b32_f16 v87, v87, v122
	v_pack_b32_f16 v88, v88, v124
	;; [unrolled: 1-line block ×16, first 2 shown]
	ds_write2_b32 v44, v87, v88 offset0:70 offset1:140
	ds_write2_b32 v69, v89, v90 offset0:82 offset1:152
	ds_write2_b32 v71, v91, v92 offset0:94 offset1:164
	ds_write2_b32 v119, v93, v94 offset0:106 offset1:176
	ds_write2_b32 v85, v95, v96 offset0:118 offset1:188
	ds_write2_b32 v86, v97, v98 offset0:2 offset1:72
	ds_write2_b32 v86, v99, v100 offset0:142 offset1:212
	ds_write2_b32 v120, v101, v102 offset0:26 offset1:96
.LBB0_13:
	s_or_b32 exec_lo, exec_lo, s2
	s_waitcnt lgkmcnt(0)
	s_barrier
	buffer_gl0_inv
	s_and_saveexec_b32 s1, vcc_lo
	s_cbranch_execz .LBB0_15
; %bb.14:
	v_add_nc_u32_e32 v21, 0x200, v44
	v_add_nc_u32_e32 v22, 0x400, v44
	;; [unrolled: 1-line block ×3, first 2 shown]
	ds_read_b32 v68, v44
	ds_read2_b32 v[31:32], v44 offset0:70 offset1:140
	ds_read2_b32 v[35:36], v21 offset0:82 offset1:152
	v_add_nc_u32_e32 v21, 0x800, v44
	ds_read2_b32 v[37:38], v22 offset0:94 offset1:164
	v_add_nc_u32_e32 v22, 0xc00, v44
	ds_read2_b32 v[29:30], v27 offset0:106 offset1:176
	ds_read2_b32 v[33:34], v21 offset0:118 offset1:188
	v_add_nc_u32_e32 v21, 0x1000, v44
	ds_read2_b32 v[39:40], v22 offset0:2 offset1:72
	ds_read2_b32 v[27:28], v22 offset0:142 offset1:212
	;; [unrolled: 1-line block ×3, first 2 shown]
	s_waitcnt lgkmcnt(8)
	v_lshrrev_b32_e32 v70, 16, v68
	s_waitcnt lgkmcnt(7)
	v_lshrrev_b32_e32 v84, 16, v31
	v_lshrrev_b32_e32 v83, 16, v32
	s_waitcnt lgkmcnt(6)
	v_lshrrev_b32_e32 v82, 16, v35
	;; [unrolled: 3-line block ×8, first 2 shown]
	v_lshrrev_b32_e32 v46, 16, v22
.LBB0_15:
	s_or_b32 exec_lo, exec_lo, s1
	v_sub_f16_e32 v101, v84, v46
	v_add_f16_e32 v112, v46, v84
	v_add_f16_e32 v85, v22, v31
	v_sub_f16_e32 v88, v31, v22
	v_sub_f16_e32 v102, v83, v47
	v_mul_f16_e32 v121, 0xbb29, v101
	v_mul_f16_e32 v126, 0x3722, v112
	v_add_f16_e32 v114, v47, v83
	v_add_f16_e32 v86, v21, v32
	v_sub_f16_e32 v91, v32, v21
	v_fma_f16 v69, v85, 0x3722, -v121
	v_fmamk_f16 v71, v88, 0xbb29, v126
	v_mul_f16_e32 v123, 0xba62, v102
	v_mul_f16_e32 v129, 0xb8d2, v114
	v_sub_f16_e32 v103, v82, v67
	v_add_f16_e32 v116, v67, v82
	v_add_f16_e32 v69, v68, v69
	v_add_f16_e32 v71, v70, v71
	v_fma_f16 v89, v86, 0xb8d2, -v123
	v_fmamk_f16 v92, v91, 0xba62, v129
	v_add_f16_e32 v87, v28, v35
	v_mul_f16_e32 v122, 0x31e1, v103
	v_sub_f16_e32 v90, v35, v28
	v_mul_f16_e32 v132, 0xbbdd, v116
	v_sub_f16_e32 v104, v81, v73
	v_add_f16_e32 v117, v73, v81
	v_add_f16_e32 v69, v89, v69
	v_add_f16_e32 v71, v92, v71
	v_fma_f16 v93, v87, 0xbbdd, -v122
	v_fmamk_f16 v94, v90, 0x31e1, v132
	v_add_f16_e32 v89, v27, v36
	v_sub_f16_e32 v92, v36, v27
	v_mul_f16_e32 v124, 0x3bb2, v104
	v_mul_f16_e32 v133, 0xb461, v117
	v_sub_f16_e32 v105, v80, v74
	v_add_f16_e32 v118, v74, v80
	v_add_f16_e32 v69, v93, v69
	v_add_f16_e32 v71, v94, v71
	v_fma_f16 v94, v89, 0xb461, -v124
	v_fmamk_f16 v96, v92, 0x3bb2, v133
	v_add_f16_e32 v93, v40, v37
	v_mul_f16_e32 v125, 0x3964, v105
	v_sub_f16_e32 v95, v37, v40
	v_mul_f16_e32 v134, 0x39e9, v118
	v_sub_f16_e32 v106, v79, v75
	v_add_f16_e32 v110, v75, v79
	v_add_f16_e32 v69, v94, v69
	v_add_f16_e32 v71, v96, v71
	v_fma_f16 v97, v93, 0x39e9, -v125
	v_fmamk_f16 v98, v95, 0x3964, v134
	v_add_f16_e32 v94, v39, v38
	v_sub_f16_e32 v96, v38, v39
	;; [unrolled: 20-line block ×3, first 2 shown]
	v_mul_f16_e32 v127, 0xb836, v108
	v_mul_f16_e32 v138, 0xbacd, v111
	v_add_f16_e32 v69, v109, v69
	v_add_f16_e32 v71, v115, v71
	v_fma_f16 v109, v98, 0xbacd, -v127
	v_fmamk_f16 v115, v100, 0xb836, v138
	s_barrier
	buffer_gl0_inv
	v_add_f16_e32 v69, v109, v69
	v_add_f16_e32 v71, v115, v71
	s_and_saveexec_b32 s1, vcc_lo
	s_cbranch_execz .LBB0_17
; %bb.16:
	v_mul_f16_e32 v155, 0xbbf7, v88
	v_mul_f16_e32 v156, 0xb1e1, v91
	;; [unrolled: 1-line block ×5, first 2 shown]
	v_fmamk_f16 v109, v112, 0x2de8, v155
	v_fmamk_f16 v115, v114, 0xbbdd, v156
	;; [unrolled: 1-line block ×3, first 2 shown]
	v_mul_f16_e32 v158, 0xbbf7, v101
	v_mul_f16_e32 v148, 0xb836, v96
	v_add_f16_e32 v109, v70, v109
	v_mul_f16_e32 v159, 0xb1e1, v102
	v_mul_f16_e32 v149, 0x3a62, v99
	;; [unrolled: 1-line block ×4, first 2 shown]
	v_add_f16_e32 v109, v115, v109
	v_fmamk_f16 v115, v117, 0x3b76, v151
	v_fmamk_f16 v120, v110, 0xbacd, v148
	v_fma_f16 v130, v86, 0xbbdd, -v159
	v_mul_f16_e32 v161, 0x35c8, v104
	v_add_f16_e32 v109, v119, v109
	v_fmamk_f16 v119, v118, 0x3722, v152
	v_fma_f16 v135, v87, 0xb461, -v157
	v_mul_f16_e32 v174, 0x3836, v91
	v_mul_f16_e32 v163, 0xbb29, v105
	v_add_f16_e32 v109, v115, v109
	v_fma_f16 v115, v85, 0x2de8, -v158
	v_mul_f16_e32 v176, 0x3964, v90
	v_mul_f16_e32 v153, 0x3964, v100
	;; [unrolled: 1-line block ×3, first 2 shown]
	v_add_f16_e32 v109, v119, v109
	v_add_f16_e32 v115, v68, v115
	v_fmamk_f16 v119, v113, 0xb8d2, v149
	v_mul_f16_e32 v170, 0xbb29, v92
	v_mul_f16_e32 v162, 0x3a62, v107
	v_add_f16_e32 v109, v120, v109
	v_add_f16_e32 v115, v130, v115
	v_fmamk_f16 v130, v112, 0xb461, v169
	v_fmamk_f16 v120, v111, 0x39e9, v153
	v_mul_f16_e32 v171, 0xb1e1, v95
	v_add_f16_e32 v109, v119, v109
	v_add_f16_e32 v115, v135, v115
	v_fma_f16 v119, v89, 0x3b76, -v161
	v_add_f16_e32 v130, v70, v130
	v_fmamk_f16 v135, v114, 0xbacd, v174
	v_add_f16_e32 v109, v120, v109
	v_mul_f16_e32 v172, 0x3bf7, v96
	v_add_f16_e32 v115, v119, v115
	v_fma_f16 v119, v93, 0x3722, -v163
	v_add_f16_e32 v130, v135, v130
	v_fmamk_f16 v135, v116, 0x39e9, v176
	v_mul_f16_e32 v164, 0x3964, v108
	v_mul_f16_e32 v180, 0xbbb2, v101
	v_add_f16_e32 v115, v119, v115
	v_fma_f16 v119, v94, 0xbacd, -v165
	v_add_f16_e32 v130, v135, v130
	v_fmamk_f16 v135, v117, 0x3722, v170
	v_mul_f16_e32 v175, 0xb5c8, v99
	v_mul_f16_e32 v181, 0x3836, v102
	v_add_f16_e32 v115, v119, v115
	v_fma_f16 v119, v97, 0xb8d2, -v162
	v_add_f16_e32 v120, v135, v130
	v_fmamk_f16 v130, v118, 0xbbdd, v171
	v_fma_f16 v135, v85, 0xb461, -v180
	v_mul_f16_e32 v182, 0x3964, v103
	v_add_f16_e32 v115, v119, v115
	v_mul_f16_e32 v167, 0xba62, v88
	v_add_f16_e32 v119, v130, v120
	v_fmamk_f16 v120, v110, 0x2de8, v172
	v_fma_f16 v130, v98, 0x39e9, -v164
	v_mul_f16_e32 v183, 0xbb29, v104
	v_fmamk_f16 v139, v112, 0xb8d2, v167
	v_mul_f16_e32 v168, 0x3bb2, v91
	v_add_f16_e32 v119, v120, v119
	v_fmamk_f16 v120, v113, 0x3b76, v175
	v_add_f16_e32 v115, v130, v115
	v_add_f16_e32 v130, v68, v135
	v_fma_f16 v135, v86, 0xbacd, -v181
	v_mul_f16_e32 v184, 0xb1e1, v105
	v_add_f16_e32 v119, v120, v119
	v_add_f16_e32 v139, v70, v139
	v_fmamk_f16 v142, v114, 0xb461, v168
	v_add_f16_e32 v120, v135, v130
	v_fma_f16 v130, v87, 0x39e9, -v182
	v_mul_f16_e32 v185, 0xb5c8, v90
	v_mul_f16_e32 v173, 0xba62, v100
	;; [unrolled: 1-line block ×3, first 2 shown]
	v_add_f16_e32 v139, v142, v139
	v_add_f16_e32 v120, v130, v120
	v_fma_f16 v130, v89, 0x3722, -v183
	v_fmamk_f16 v142, v116, 0x3b76, v185
	v_mul_f16_e32 v186, 0xb836, v92
	v_fmamk_f16 v135, v111, 0xb8d2, v173
	v_mul_f16_e32 v178, 0xb5c8, v107
	v_add_f16_e32 v120, v130, v120
	v_fma_f16 v130, v93, 0xbbdd, -v184
	v_add_f16_e32 v139, v142, v139
	v_fmamk_f16 v142, v117, 0xbacd, v186
	v_mul_f16_e32 v187, 0x3bf7, v95
	v_add_f16_e32 v119, v135, v119
	v_add_f16_e32 v120, v130, v120
	v_fma_f16 v130, v94, 0x2de8, -v177
	v_add_f16_e32 v135, v142, v139
	v_fmamk_f16 v139, v118, 0x2de8, v187
	v_mul_f16_e32 v188, 0xb964, v96
	v_mul_f16_e32 v179, 0xba62, v108
	v_add_f16_e32 v120, v130, v120
	v_fma_f16 v130, v97, 0x3b76, -v178
	v_mul_f16_e32 v189, 0xba62, v101
	v_mul_f16_e32 v190, 0xb1e1, v99
	;; [unrolled: 1-line block ×4, first 2 shown]
	v_add_f16_e32 v120, v130, v120
	v_add_f16_e32 v130, v139, v135
	v_fmamk_f16 v135, v110, 0x39e9, v188
	v_fma_f16 v139, v98, 0xb8d2, -v179
	v_fma_f16 v142, v85, 0xb8d2, -v189
	v_mul_f16_e32 v160, 0xb836, v88
	v_mul_f16_e32 v194, 0xb836, v104
	v_add_f16_e32 v130, v135, v130
	v_fmamk_f16 v135, v113, 0xbbdd, v190
	v_add_f16_e32 v120, v139, v120
	v_add_f16_e32 v139, v68, v142
	v_fma_f16 v142, v86, 0xb461, -v191
	v_fmamk_f16 v147, v112, 0xbacd, v160
	v_add_f16_e32 v130, v135, v130
	v_mul_f16_e32 v166, 0x3b29, v91
	v_mul_f16_e32 v195, 0x3bf7, v105
	v_add_f16_e32 v135, v142, v139
	v_fma_f16 v139, v87, 0x3b76, -v192
	v_add_f16_e32 v147, v70, v147
	v_fmamk_f16 v154, v114, 0x3722, v166
	v_mul_f16_e32 v196, 0xbbf7, v90
	v_mul_f16_e32 v193, 0x3b29, v100
	v_add_f16_e32 v135, v139, v135
	v_fma_f16 v139, v89, 0xbacd, -v194
	v_mul_f16_e32 v197, 0xb964, v106
	v_add_f16_e32 v147, v154, v147
	v_fmamk_f16 v154, v116, 0x2de8, v196
	v_mul_f16_e32 v198, 0x3a62, v92
	v_add_f16_e32 v135, v139, v135
	v_fma_f16 v139, v93, 0x2de8, -v195
	v_fmamk_f16 v142, v111, 0x3722, v193
	v_mul_f16_e32 v199, 0xb1e1, v107
	v_add_f16_e32 v147, v154, v147
	v_fmamk_f16 v154, v117, 0xb8d2, v198
	v_add_f16_e32 v135, v139, v135
	v_fma_f16 v139, v94, 0x39e9, -v197
	v_mul_f16_e32 v200, 0xb5c8, v95
	v_add_f16_e32 v130, v142, v130
	v_add_f16_e32 v142, v154, v147
	v_mul_f16_e32 v201, 0xb1e1, v96
	v_add_f16_e32 v135, v139, v135
	v_fma_f16 v139, v97, 0xbbdd, -v199
	v_fmamk_f16 v147, v118, 0x3b76, v200
	v_mul_f16_e32 v202, 0x3b29, v108
	v_mul_f16_e32 v203, 0xb836, v101
	;; [unrolled: 1-line block ×3, first 2 shown]
	v_add_f16_e32 v135, v139, v135
	v_add_f16_e32 v139, v147, v142
	v_fmamk_f16 v142, v110, 0xbbdd, v201
	v_fma_f16 v147, v98, 0x3722, -v202
	v_fma_f16 v154, v85, 0xbacd, -v203
	v_mul_f16_e32 v205, 0x3b29, v102
	v_mul_f16_e32 v206, 0xbbf7, v103
	v_add_f16_e32 v139, v142, v139
	v_fmamk_f16 v142, v113, 0x39e9, v204
	v_add_f16_e32 v135, v147, v135
	v_add_f16_e32 v147, v68, v154
	v_fma_f16 v154, v86, 0x3722, -v205
	v_mul_f16_e32 v208, 0xb1e1, v88
	v_add_f16_e32 v139, v142, v139
	v_mul_f16_e32 v209, 0x3a62, v104
	v_mul_f16_e32 v211, 0x35c8, v91
	v_add_f16_e32 v142, v154, v147
	v_fma_f16 v147, v87, 0x2de8, -v206
	v_fmamk_f16 v210, v112, 0xbbdd, v208
	v_mul_f16_e32 v212, 0xb5c8, v105
	v_fmamk_f16 v213, v114, 0x3b76, v211
	v_mul_f16_e32 v214, 0xb836, v90
	v_add_f16_e32 v142, v147, v142
	v_fma_f16 v147, v89, 0xb8d2, -v209
	v_add_f16_e32 v210, v70, v210
	v_mul_f16_e32 v207, 0xbbb2, v100
	v_mul_f16_e32 v215, 0xb1e1, v106
	;; [unrolled: 1-line block ×3, first 2 shown]
	v_add_f16_e32 v142, v147, v142
	v_fma_f16 v147, v93, 0x3b76, -v212
	v_add_f16_e32 v210, v213, v210
	v_fmamk_f16 v213, v116, 0xbacd, v214
	v_fmamk_f16 v154, v111, 0xb461, v207
	v_mul_f16_e32 v217, 0x3964, v107
	v_add_f16_e32 v142, v147, v142
	v_fma_f16 v147, v94, 0xbbdd, -v215
	v_add_f16_e32 v210, v213, v210
	v_fmamk_f16 v213, v117, 0x39e9, v216
	v_mul_f16_e32 v218, 0xba62, v95
	v_add_f16_e32 v139, v154, v139
	v_add_f16_e32 v142, v147, v142
	v_fma_f16 v147, v97, 0x39e9, -v217
	v_add_f16_e32 v154, v213, v210
	v_fmamk_f16 v210, v118, 0xb8d2, v218
	v_mul_f16_e32 v213, 0x3b29, v96
	v_mul_f16_e32 v219, 0xbbb2, v108
	v_add_f16_e32 v142, v147, v142
	v_mul_f16_e32 v220, 0xb1e1, v101
	v_add_f16_e32 v147, v210, v154
	v_fmamk_f16 v154, v110, 0x3722, v213
	v_mul_f16_e32 v210, 0xbbb2, v99
	v_fma_f16 v211, v114, 0x3b76, -v211
	v_fma_f16 v221, v98, 0xb461, -v219
	;; [unrolled: 1-line block ×3, first 2 shown]
	v_add_f16_e32 v147, v154, v147
	v_fmamk_f16 v154, v113, 0xb461, v210
	v_mul_f16_e32 v223, 0x35c8, v102
	v_fma_f16 v214, v116, 0xbacd, -v214
	v_fmac_f16_e32 v220, 0xbbdd, v85
	v_add_f16_e32 v142, v221, v142
	v_add_f16_e32 v147, v154, v147
	v_fma_f16 v154, v112, 0xbbdd, -v208
	v_add_f16_e32 v221, v68, v222
	v_fma_f16 v222, v86, 0x3b76, -v223
	v_mul_f16_e32 v224, 0xb836, v103
	v_add_f16_e32 v220, v68, v220
	v_add_f16_e32 v154, v70, v154
	v_fmac_f16_e32 v223, 0x3b76, v86
	v_mul_f16_e32 v208, 0x3bf7, v100
	v_add_f16_e32 v221, v222, v221
	v_fma_f16 v222, v87, 0xbacd, -v224
	v_add_f16_e32 v154, v211, v154
	v_mul_f16_e32 v225, 0x3964, v104
	v_fma_f16 v218, v118, 0xb8d2, -v218
	v_add_f16_e32 v220, v223, v220
	v_fmac_f16_e32 v224, 0xbacd, v87
	v_add_f16_e32 v154, v214, v154
	v_fma_f16 v214, v117, 0x39e9, -v216
	v_fmamk_f16 v226, v111, 0x2de8, v208
	v_add_f16_e32 v221, v222, v221
	v_fma_f16 v222, v89, 0x39e9, -v225
	v_mul_f16_e32 v227, 0xba62, v105
	v_add_f16_e32 v154, v214, v154
	v_fma_f16 v213, v110, 0x3722, -v213
	v_add_f16_e32 v220, v224, v220
	v_fmac_f16_e32 v225, 0x39e9, v89
	v_add_f16_e32 v147, v226, v147
	v_add_f16_e32 v154, v218, v154
	;; [unrolled: 1-line block ×3, first 2 shown]
	v_fma_f16 v222, v93, 0xb8d2, -v227
	v_mul_f16_e32 v226, 0x3b29, v106
	v_fma_f16 v210, v113, 0xb461, -v210
	v_add_f16_e32 v213, v213, v154
	v_add_f16_e32 v220, v225, v220
	v_fmac_f16_e32 v227, 0xb8d2, v93
	v_fma_f16 v160, v112, 0xbacd, -v160
	v_add_f16_e32 v221, v222, v221
	v_fma_f16 v222, v94, 0x3722, -v226
	v_mul_f16_e32 v214, 0xbbb2, v107
	v_add_f16_e32 v210, v210, v213
	v_fma_f16 v208, v111, 0x2de8, -v208
	v_add_f16_e32 v220, v227, v220
	v_add_f16_e32 v227, v70, v160
	v_fma_f16 v166, v114, 0x3722, -v166
	v_fmac_f16_e32 v226, 0x3722, v94
	v_fmac_f16_e32 v203, 0xbacd, v85
	v_add_f16_e32 v221, v222, v221
	v_fma_f16 v222, v97, 0xb461, -v214
	v_mul_f16_e32 v218, 0x3bf7, v108
	v_add_f16_e32 v160, v208, v210
	v_add_f16_e32 v166, v166, v227
	v_fma_f16 v196, v116, 0x2de8, -v196
	v_add_f16_e32 v210, v226, v220
	v_fmac_f16_e32 v214, 0xb461, v97
	v_add_f16_e32 v203, v68, v203
	v_fmac_f16_e32 v205, 0x3722, v86
	v_add_f16_e32 v221, v222, v221
	v_fma_f16 v222, v98, 0x2de8, -v218
	v_add_f16_e32 v166, v196, v166
	v_fma_f16 v196, v117, 0xb8d2, -v198
	v_add_f16_e32 v198, v214, v210
	v_fmac_f16_e32 v218, 0x2de8, v98
	v_add_f16_e32 v203, v205, v203
	v_fmac_f16_e32 v206, 0x2de8, v87
	v_add_f16_e32 v196, v196, v166
	v_fma_f16 v167, v112, 0xb8d2, -v167
	v_add_f16_e32 v166, v218, v198
	v_fmac_f16_e32 v209, 0xb8d2, v89
	v_add_f16_e32 v198, v206, v203
	v_fma_f16 v168, v114, 0xb461, -v168
	v_add_f16_e32 v167, v70, v167
	v_fmac_f16_e32 v212, 0x3b76, v93
	v_fmac_f16_e32 v215, 0xbbdd, v94
	v_add_f16_e32 v198, v209, v198
	v_fma_f16 v186, v117, 0xbacd, -v186
	v_add_f16_e32 v167, v168, v167
	v_fma_f16 v168, v116, 0x3b76, -v185
	v_fmac_f16_e32 v217, 0x39e9, v97
	v_add_f16_e32 v185, v212, v198
	v_fmac_f16_e32 v189, 0xb8d2, v85
	v_fmac_f16_e32 v219, 0xb461, v98
	v_add_f16_e32 v168, v168, v167
	v_fmac_f16_e32 v191, 0xb461, v86
	v_add_f16_e32 v185, v215, v185
	v_fma_f16 v169, v112, 0xb461, -v169
	v_fmac_f16_e32 v192, 0x3b76, v87
	v_add_f16_e32 v168, v186, v168
	v_fma_f16 v186, v118, 0x2de8, -v187
	v_add_f16_e32 v185, v217, v185
	v_add_f16_e32 v187, v68, v189
	v_add_f16_e32 v169, v70, v169
	v_fma_f16 v174, v114, 0xbacd, -v174
	v_add_f16_e32 v186, v186, v168
	v_add_f16_e32 v168, v219, v185
	;; [unrolled: 1-line block ×3, first 2 shown]
	v_fmac_f16_e32 v194, 0xbacd, v89
	v_add_f16_e32 v174, v174, v169
	v_fma_f16 v176, v116, 0x39e9, -v176
	v_fmac_f16_e32 v195, 0x2de8, v93
	v_add_f16_e32 v185, v192, v185
	v_fmac_f16_e32 v180, 0xb461, v85
	v_fma_f16 v170, v117, 0x3722, -v170
	v_add_f16_e32 v174, v176, v174
	v_fmac_f16_e32 v197, 0x39e9, v94
	v_add_f16_e32 v185, v194, v185
	v_add_f16_e32 v180, v68, v180
	v_fmac_f16_e32 v181, 0xbacd, v86
	v_add_f16_e32 v170, v170, v174
	v_fma_f16 v171, v118, 0xbbdd, -v171
	v_add_f16_e32 v176, v195, v185
	v_fmac_f16_e32 v199, 0xbbdd, v97
	v_fmac_f16_e32 v182, 0x39e9, v87
	v_fmac_f16_e32 v183, 0x3722, v89
	v_add_f16_e32 v170, v171, v170
	v_add_f16_e32 v174, v197, v176
	;; [unrolled: 1-line block ×3, first 2 shown]
	v_fma_f16 v171, v110, 0x2de8, -v172
	v_fma_f16 v155, v112, 0x2de8, -v155
	v_mul_f16_e32 v144, 0xbb29, v88
	v_add_f16_e32 v172, v199, v174
	v_add_f16_e32 v174, v182, v176
	;; [unrolled: 1-line block ×3, first 2 shown]
	v_fma_f16 v171, v113, 0x3b76, -v175
	v_fmac_f16_e32 v184, 0xbbdd, v93
	v_add_f16_e32 v155, v70, v155
	v_add_f16_e32 v174, v183, v174
	v_fma_f16 v156, v114, 0xbbdd, -v156
	v_mul_f16_e32 v145, 0xba62, v91
	v_add_f16_e32 v170, v171, v170
	v_fma_f16 v171, v111, 0xb8d2, -v173
	v_add_f16_e32 v173, v184, v174
	v_fmac_f16_e32 v177, 0x2de8, v94
	v_fmac_f16_e32 v158, 0x2de8, v85
	v_add_f16_e32 v155, v156, v155
	v_fma_f16 v150, v116, 0xb461, -v150
	v_sub_f16_e32 v126, v126, v144
	v_mul_f16_e32 v146, 0x31e1, v90
	v_add_f16_e32 v156, v177, v173
	v_fmac_f16_e32 v178, 0x3b76, v97
	v_add_f16_e32 v158, v68, v158
	v_fmac_f16_e32 v159, 0xbbdd, v86
	v_add_f16_e32 v150, v150, v155
	v_fma_f16 v151, v117, 0x3b76, -v151
	v_add_f16_e32 v126, v70, v126
	v_sub_f16_e32 v129, v129, v145
	v_mul_f16_e32 v216, 0x3bb2, v92
	v_add_f16_e32 v155, v178, v156
	v_add_f16_e32 v156, v159, v158
	v_fmac_f16_e32 v157, 0xb461, v87
	v_add_f16_e32 v150, v151, v150
	v_fma_f16 v151, v118, 0x3722, -v152
	v_add_f16_e32 v126, v129, v126
	v_sub_f16_e32 v129, v132, v146
	v_mul_f16_e32 v143, 0x3722, v85
	v_mul_f16_e32 v224, 0x3964, v95
	v_add_f16_e32 v144, v157, v156
	v_fmac_f16_e32 v161, 0x3b76, v89
	v_add_f16_e32 v150, v151, v150
	v_fma_f16 v148, v110, 0xbacd, -v148
	v_add_f16_e32 v126, v129, v126
	v_sub_f16_e32 v129, v133, v216
	v_mul_f16_e32 v141, 0xb8d2, v86
	v_add_f16_e32 v154, v222, v221
	v_mul_f16_e32 v221, 0xb5c8, v96
	v_add_f16_e32 v144, v161, v144
	v_fmac_f16_e32 v163, 0x3722, v93
	v_add_f16_e32 v145, v148, v150
	v_fma_f16 v148, v113, 0xb8d2, -v149
	v_add_f16_e32 v121, v143, v121
	v_add_f16_e32 v126, v129, v126
	v_sub_f16_e32 v129, v134, v224
	v_mul_f16_e32 v140, 0xbbdd, v87
	v_mul_f16_e32 v213, 0xbbf7, v99
	v_add_f16_e32 v132, v163, v144
	v_add_f16_e32 v144, v148, v145
	v_fma_f16 v145, v111, 0x39e9, -v153
	v_add_f16_e32 v121, v68, v121
	v_add_f16_e32 v123, v141, v123
	;; [unrolled: 1-line block ×3, first 2 shown]
	v_sub_f16_e32 v129, v137, v221
	v_mul_f16_e32 v134, 0x39e9, v112
	v_mul_f16_e32 v112, 0x3b76, v112
	;; [unrolled: 1-line block ×3, first 2 shown]
	v_add_f16_e32 v133, v145, v144
	v_add_f16_e32 v121, v123, v121
	;; [unrolled: 1-line block ×4, first 2 shown]
	v_sub_f16_e32 v126, v136, v213
	v_fmamk_f16 v129, v88, 0x3964, v134
	v_mul_f16_e32 v136, 0x2de8, v114
	v_fmamk_f16 v145, v88, 0x35c8, v112
	v_mul_f16_e32 v114, 0x39e9, v114
	v_add_f16_e32 v31, v31, v68
	v_add_f16_e32 v84, v84, v70
	v_mul_f16_e32 v223, 0x39e9, v93
	v_add_f16_e32 v121, v122, v121
	v_add_f16_e32 v122, v211, v124
	;; [unrolled: 1-line block ×4, first 2 shown]
	v_fmamk_f16 v126, v91, 0x3bf7, v136
	v_mul_f16_e32 v129, 0xb8d2, v116
	v_add_f16_e32 v145, v70, v145
	v_fmamk_f16 v148, v91, 0x3964, v114
	v_mul_f16_e32 v116, 0x3722, v116
	v_add_f16_e32 v31, v32, v31
	v_add_f16_e32 v32, v83, v84
	v_mul_f16_e32 v228, 0x3b76, v94
	v_add_f16_e32 v121, v122, v121
	v_add_f16_e32 v122, v223, v125
	;; [unrolled: 1-line block ×3, first 2 shown]
	v_fmamk_f16 v126, v90, 0x3a62, v129
	v_mul_f16_e32 v137, 0xbbdd, v117
	v_add_f16_e32 v145, v148, v145
	v_fmamk_f16 v148, v90, 0x3b29, v116
	v_mul_f16_e32 v117, 0x2de8, v117
	v_add_f16_e32 v31, v35, v31
	v_add_f16_e32 v32, v82, v32
	v_mul_f16_e32 v222, 0x2de8, v97
	v_fma_f16 v200, v118, 0x3b76, -v200
	v_add_f16_e32 v121, v122, v121
	v_add_f16_e32 v122, v228, v128
	;; [unrolled: 1-line block ×3, first 2 shown]
	v_mul_f16_e32 v126, 0xbacd, v118
	v_add_f16_e32 v145, v148, v145
	v_fmamk_f16 v148, v92, 0x3bf7, v117
	v_mul_f16_e32 v118, 0xb461, v118
	v_add_f16_e32 v31, v36, v31
	v_add_f16_e32 v32, v81, v32
	;; [unrolled: 1-line block ×3, first 2 shown]
	v_fma_f16 v200, v110, 0xbbdd, -v201
	v_fma_f16 v188, v110, 0x39e9, -v188
	v_add_f16_e32 v121, v122, v121
	v_add_f16_e32 v122, v222, v131
	v_mul_f16_e32 v131, 0xb461, v110
	v_add_f16_e32 v145, v148, v145
	v_fmamk_f16 v148, v95, 0x3bb2, v118
	v_mul_f16_e32 v110, 0xb8d2, v110
	v_add_f16_e32 v31, v37, v31
	v_add_f16_e32 v32, v80, v32
	v_mul_f16_e32 v128, 0xb964, v101
	v_add_f16_e32 v145, v148, v145
	v_fmamk_f16 v83, v96, 0x3a62, v110
	v_mul_f16_e32 v101, 0xb5c8, v101
	v_add_f16_e32 v31, v38, v31
	v_add_f16_e32 v32, v79, v32
	v_mul_f16_e32 v36, 0xb964, v102
	v_add_f16_e32 v35, v83, v145
	v_fmamk_f16 v83, v85, 0x3b76, v101
	v_add_f16_e32 v29, v29, v31
	v_add_f16_e32 v31, v72, v32
	v_fmamk_f16 v37, v86, 0x39e9, v36
	v_mul_f16_e32 v80, 0xbb29, v103
	v_add_f16_e32 v83, v68, v83
	v_add_f16_e32 v29, v30, v29
	;; [unrolled: 1-line block ×3, first 2 shown]
	v_mul_f16_e32 v79, 0xbbf7, v104
	v_fmamk_f16 v38, v87, 0x3722, v80
	v_add_f16_e32 v37, v37, v83
	v_add_f16_e32 v29, v33, v29
	;; [unrolled: 1-line block ×3, first 2 shown]
	v_fmac_f16_e32 v134, 0xb964, v88
	v_mul_f16_e32 v208, 0xb836, v100
	v_add_f16_e32 v37, v38, v37
	v_fmamk_f16 v38, v89, 0x2de8, v79
	v_mul_f16_e32 v72, 0xbbb2, v105
	v_add_f16_e32 v29, v34, v29
	v_add_f16_e32 v30, v76, v30
	;; [unrolled: 1-line block ×3, first 2 shown]
	v_fmac_f16_e32 v136, 0xbbf7, v91
	v_sub_f16_e32 v125, v138, v208
	v_add_f16_e32 v37, v38, v37
	v_fmamk_f16 v33, v93, 0xb461, v72
	v_mul_f16_e32 v38, 0xba62, v106
	v_add_f16_e32 v29, v39, v29
	v_add_f16_e32 v30, v75, v30
	;; [unrolled: 1-line block ×3, first 2 shown]
	v_fmac_f16_e32 v129, 0xba62, v90
	v_add_f16_e32 v123, v125, v123
	v_fmamk_f16 v125, v92, 0x31e1, v137
	v_add_f16_e32 v33, v33, v37
	v_fmamk_f16 v37, v94, 0xb8d2, v38
	v_add_f16_e32 v29, v40, v29
	v_add_f16_e32 v30, v74, v30
	;; [unrolled: 1-line block ×3, first 2 shown]
	v_fmac_f16_e32 v137, 0xb1e1, v92
	v_add_f16_e32 v124, v125, v124
	v_fmamk_f16 v125, v95, 0xb836, v126
	v_mul_f16_e32 v82, 0xbacd, v113
	v_add_f16_e32 v33, v37, v33
	v_mul_f16_e32 v37, 0xb836, v107
	v_add_f16_e32 v27, v27, v29
	v_add_f16_e32 v29, v73, v30
	;; [unrolled: 1-line block ×3, first 2 shown]
	v_fmac_f16_e32 v126, 0x3836, v95
	v_add_f16_e32 v121, v122, v121
	v_fmamk_f16 v122, v85, 0x39e9, v128
	v_mul_f16_e32 v138, 0xbbf7, v102
	v_add_f16_e32 v124, v125, v124
	v_fmamk_f16 v125, v96, 0xbbb2, v131
	v_mul_f16_e32 v140, 0x3722, v113
	v_fmamk_f16 v81, v99, 0x3836, v82
	v_mul_f16_e32 v32, 0xbbdd, v111
	;; [unrolled: 2-line block ×3, first 2 shown]
	v_add_f16_e32 v27, v28, v27
	v_add_f16_e32 v28, v67, v29
	;; [unrolled: 1-line block ×3, first 2 shown]
	v_fmac_f16_e32 v131, 0x3bb2, v96
	v_mul_f16_e32 v225, 0xbacd, v98
	v_add_f16_e32 v122, v68, v122
	v_fmamk_f16 v141, v86, 0x2de8, v138
	v_mul_f16_e32 v143, 0xba62, v103
	v_add_f16_e32 v124, v125, v124
	v_fmamk_f16 v125, v99, 0xbb29, v140
	v_add_f16_e32 v35, v81, v35
	v_fmamk_f16 v31, v100, 0x31e1, v32
	;; [unrolled: 2-line block ×3, first 2 shown]
	v_add_f16_e32 v21, v21, v27
	v_add_f16_e32 v27, v47, v28
	;; [unrolled: 1-line block ×3, first 2 shown]
	v_fmac_f16_e32 v140, 0x3b29, v99
	v_fma_f16 v29, v85, 0x39e9, -v128
	v_fmac_f16_e32 v112, 0xb5c8, v88
	v_add_f16_e32 v127, v225, v127
	v_add_f16_e32 v122, v141, v122
	v_fmamk_f16 v141, v87, 0xb8d2, v143
	v_mul_f16_e32 v144, 0xb1e1, v104
	v_add_f16_e32 v30, v31, v35
	v_add_f16_e32 v31, v34, v33
	v_add_f16_e32 v21, v22, v21
	v_add_f16_e32 v22, v46, v27
	v_add_f16_e32 v27, v140, v28
	v_add_f16_e32 v28, v68, v29
	v_fma_f16 v29, v86, 0x2de8, -v138
	v_add_f16_e32 v33, v70, v112
	v_fmac_f16_e32 v114, 0xb964, v91
	v_fma_f16 v34, v85, 0x3b76, -v101
	v_add_f16_e32 v121, v127, v121
	v_add_f16_e32 v124, v125, v124
	;; [unrolled: 1-line block ×3, first 2 shown]
	v_fmamk_f16 v125, v89, 0xbbdd, v144
	v_mul_f16_e32 v127, 0x3836, v105
	v_add_f16_e32 v28, v29, v28
	v_fma_f16 v29, v87, 0xb8d2, -v143
	v_add_f16_e32 v33, v114, v33
	v_fmac_f16_e32 v116, 0xbb29, v90
	v_add_f16_e32 v34, v68, v34
	v_fma_f16 v35, v86, 0x39e9, -v36
	v_add_f16_e32 v122, v125, v122
	v_fmamk_f16 v125, v93, 0xbacd, v127
	v_mul_f16_e32 v146, 0x3bb2, v106
	v_add_f16_e32 v28, v29, v28
	v_fma_f16 v29, v89, 0xbbdd, -v144
	v_add_f16_e32 v33, v116, v33
	v_fmac_f16_e32 v117, 0xbbf7, v92
	v_add_f16_e32 v34, v35, v34
	v_fma_f16 v35, v87, 0x3722, -v80
	v_add_f16_e32 v122, v125, v122
	v_fmamk_f16 v125, v94, 0xb461, v146
	v_mul_f16_e32 v149, 0x3b29, v107
	v_add_f16_e32 v28, v29, v28
	v_fma_f16 v29, v93, 0xbacd, -v127
	v_add_f16_e32 v33, v117, v33
	v_fmac_f16_e32 v118, 0xbbb2, v95
	v_add_f16_e32 v34, v35, v34
	v_fma_f16 v35, v89, 0x2de8, -v79
	v_mul_f16_e32 v141, 0x3b76, v111
	v_add_f16_e32 v122, v125, v122
	v_fmamk_f16 v125, v97, 0x3722, v149
	v_fmac_f16_e32 v165, 0xbacd, v94
	v_add_f16_e32 v28, v29, v28
	v_fma_f16 v29, v94, 0xb461, -v146
	v_add_f16_e32 v33, v118, v33
	v_fmac_f16_e32 v110, 0xba62, v96
	v_add_f16_e32 v34, v35, v34
	v_fma_f16 v35, v93, 0xb461, -v72
	v_fmamk_f16 v150, v100, 0xb5c8, v141
	v_add_f16_e32 v122, v125, v122
	v_mul_f16_e32 v125, 0x35c8, v108
	v_add_f16_e32 v132, v165, v132
	v_fmac_f16_e32 v162, 0xb8d2, v97
	v_add_f16_e32 v196, v200, v196
	v_fma_f16 v200, v113, 0x39e9, -v204
	v_add_f16_e32 v186, v188, v186
	v_fma_f16 v187, v113, 0xbbdd, -v190
	;; [unrolled: 2-line block ×3, first 2 shown]
	v_add_f16_e32 v33, v110, v33
	v_fmac_f16_e32 v82, 0xb836, v99
	v_add_f16_e32 v34, v35, v34
	v_fma_f16 v35, v94, 0xb8d2, -v38
	v_add_f16_e32 v124, v150, v124
	v_fmamk_f16 v150, v98, 0x3b76, v125
	v_fmac_f16_e32 v179, 0xb8d2, v98
	v_add_f16_e32 v132, v162, v132
	v_fmac_f16_e32 v164, 0x39e9, v98
	v_add_f16_e32 v196, v200, v196
	v_fma_f16 v198, v111, 0xb461, -v207
	v_add_f16_e32 v186, v187, v186
	v_fma_f16 v187, v111, 0x3722, -v193
	v_fmac_f16_e32 v202, 0x3722, v98
	v_add_f16_e32 v28, v29, v28
	v_fma_f16 v29, v98, 0x3b76, -v125
	v_add_f16_e32 v33, v82, v33
	v_fmac_f16_e32 v32, 0xb1e1, v100
	v_add_f16_e32 v34, v35, v34
	v_fma_f16 v35, v97, 0xbacd, -v37
	v_and_b32_e32 v36, 0xffff, v45
	v_add_f16_e32 v84, v150, v122
	v_add_f16_e32 v170, v171, v170
	;; [unrolled: 1-line block ×7, first 2 shown]
	v_fmac_f16_e32 v141, 0x35c8, v100
	v_add_f16_e32 v28, v29, v28
	v_add_f16_e32 v29, v32, v33
	;; [unrolled: 1-line block ×3, first 2 shown]
	v_fma_f16 v33, v98, 0xbbdd, -v40
	v_lshl_add_u32 v34, v36, 2, v43
	v_pack_b32_f16 v30, v31, v30
	v_pack_b32_f16 v21, v21, v22
	;; [unrolled: 1-line block ×6, first 2 shown]
	v_add_f16_e32 v27, v141, v27
	v_pack_b32_f16 v37, v168, v167
	v_pack_b32_f16 v38, v172, v169
	v_add_f16_e32 v32, v33, v32
	ds_write2_b32 v34, v21, v30 offset1:1
	ds_write2_b32 v34, v31, v22 offset0:2 offset1:3
	ds_write2_b32 v34, v36, v35 offset0:4 offset1:5
	;; [unrolled: 1-line block ×3, first 2 shown]
	v_pack_b32_f16 v21, v154, v147
	v_pack_b32_f16 v22, v166, v160
	;; [unrolled: 1-line block ×7, first 2 shown]
	v_perm_b32 v28, v71, v69, 0x5040100
	v_pack_b32_f16 v29, v32, v29
	ds_write2_b32 v34, v22, v21 offset0:8 offset1:9
	ds_write2_b32 v34, v31, v30 offset0:10 offset1:11
	;; [unrolled: 1-line block ×4, first 2 shown]
	ds_write_b32 v34, v29 offset:64
.LBB0_17:
	s_or_b32 exec_lo, exec_lo, s1
	v_add_nc_u32_e32 v67, 0x600, v48
	v_add_nc_u32_e32 v31, 0x800, v48
	s_waitcnt lgkmcnt(0)
	s_barrier
	buffer_gl0_inv
	ds_read2_b32 v[21:22], v48 offset1:85
	ds_read2_b32 v[27:28], v48 offset0:170 offset1:255
	ds_read2_b32 v[29:30], v67 offset0:126 offset1:211
	;; [unrolled: 1-line block ×3, first 2 shown]
	v_add_nc_u32_e32 v33, 0xc00, v48
	v_add_nc_u32_e32 v35, 0x400, v48
	;; [unrolled: 1-line block ×3, first 2 shown]
	ds_read2_b32 v[33:34], v33 offset0:82 offset1:167
	ds_read2_b32 v[35:36], v35 offset0:84 offset1:169
	;; [unrolled: 1-line block ×3, first 2 shown]
	s_waitcnt lgkmcnt(0)
	s_barrier
	buffer_gl0_inv
	v_lshrrev_b32_e32 v39, 16, v21
	v_lshrrev_b32_e32 v47, 16, v30
	v_lshrrev_b32_e32 v70, 16, v31
	v_lshrrev_b32_e32 v72, 16, v32
	v_mul_f16_sdwa v79, v57, v30 dst_sel:DWORD dst_unused:UNUSED_PAD src0_sel:WORD_1 src1_sel:DWORD
	v_mul_f16_sdwa v83, v56, v31 dst_sel:DWORD dst_unused:UNUSED_PAD src0_sel:WORD_1 src1_sel:DWORD
	;; [unrolled: 1-line block ×3, first 2 shown]
	v_lshrrev_b32_e32 v73, 16, v33
	v_mul_f16_sdwa v81, v56, v70 dst_sel:DWORD dst_unused:UNUSED_PAD src0_sel:WORD_1 src1_sel:DWORD
	v_lshrrev_b32_e32 v75, 16, v34
	v_lshrrev_b32_e32 v77, 16, v37
	v_fmac_f16_e32 v80, v57, v30
	v_mul_f16_sdwa v30, v55, v72 dst_sel:DWORD dst_unused:UNUSED_PAD src0_sel:WORD_1 src1_sel:DWORD
	v_fma_f16 v47, v57, v47, -v79
	v_fmac_f16_e32 v81, v56, v31
	v_mul_f16_sdwa v31, v55, v32 dst_sel:DWORD dst_unused:UNUSED_PAD src0_sel:WORD_1 src1_sel:DWORD
	v_mul_f16_sdwa v57, v54, v73 dst_sel:DWORD dst_unused:UNUSED_PAD src0_sel:WORD_1 src1_sel:DWORD
	v_fma_f16 v56, v56, v70, -v83
	v_mul_f16_sdwa v70, v54, v33 dst_sel:DWORD dst_unused:UNUSED_PAD src0_sel:WORD_1 src1_sel:DWORD
	v_lshrrev_b32_e32 v82, 16, v38
	v_fmac_f16_e32 v30, v55, v32
	v_mul_f16_sdwa v32, v53, v75 dst_sel:DWORD dst_unused:UNUSED_PAD src0_sel:WORD_1 src1_sel:DWORD
	v_fma_f16 v31, v55, v72, -v31
	v_fmac_f16_e32 v57, v54, v33
	v_fma_f16 v33, v54, v73, -v70
	v_mul_f16_sdwa v55, v52, v77 dst_sel:DWORD dst_unused:UNUSED_PAD src0_sel:WORD_1 src1_sel:DWORD
	v_mul_f16_sdwa v70, v52, v37 dst_sel:DWORD dst_unused:UNUSED_PAD src0_sel:WORD_1 src1_sel:DWORD
	;; [unrolled: 1-line block ×3, first 2 shown]
	v_fmac_f16_e32 v32, v53, v34
	v_mul_f16_sdwa v34, v51, v82 dst_sel:DWORD dst_unused:UNUSED_PAD src0_sel:WORD_1 src1_sel:DWORD
	v_lshrrev_b32_e32 v40, 16, v22
	v_fmac_f16_e32 v55, v52, v37
	v_fma_f16 v37, v52, v77, -v70
	v_mul_f16_sdwa v52, v51, v38 dst_sel:DWORD dst_unused:UNUSED_PAD src0_sel:WORD_1 src1_sel:DWORD
	v_lshrrev_b32_e32 v45, 16, v27
	v_fma_f16 v53, v53, v75, -v54
	v_fmac_f16_e32 v34, v51, v38
	v_sub_f16_e32 v38, v21, v80
	v_sub_f16_e32 v54, v39, v47
	v_sub_f16_e32 v70, v22, v81
	v_sub_f16_e32 v57, v28, v57
	v_lshrrev_b32_e32 v46, 16, v28
	v_fma_f16 v51, v51, v82, -v52
	v_sub_f16_e32 v52, v40, v56
	v_lshrrev_b32_e32 v74, 16, v35
	v_lshrrev_b32_e32 v76, 16, v36
	v_lshrrev_b32_e32 v78, 16, v29
	v_sub_f16_e32 v31, v45, v31
	v_fma_f16 v56, v21, 2.0, -v38
	v_fma_f16 v39, v39, 2.0, -v54
	;; [unrolled: 1-line block ×3, first 2 shown]
	v_sub_f16_e32 v30, v27, v30
	v_fma_f16 v79, v28, 2.0, -v57
	v_sub_f16_e32 v22, v36, v55
	v_sub_f16_e32 v28, v29, v34
	v_fma_f16 v73, v40, 2.0, -v52
	v_sub_f16_e32 v33, v46, v33
	v_sub_f16_e32 v32, v35, v32
	;; [unrolled: 1-line block ×4, first 2 shown]
	v_fma_f16 v77, v45, 2.0, -v31
	v_sub_f16_e32 v45, v78, v51
	v_fma_f16 v75, v27, 2.0, -v30
	v_fma_f16 v21, v36, 2.0, -v22
	;; [unrolled: 1-line block ×3, first 2 shown]
	v_pack_b32_f16 v29, v56, v39
	v_pack_b32_f16 v36, v38, v54
	v_fma_f16 v80, v46, 2.0, -v33
	v_pack_b32_f16 v37, v72, v73
	v_pack_b32_f16 v38, v70, v52
	v_fma_f16 v35, v35, 2.0, -v32
	v_fma_f16 v34, v74, 2.0, -v53
	v_fma_f16 v40, v76, 2.0, -v47
	v_fma_f16 v46, v78, 2.0, -v45
	ds_write2_b32 v63, v29, v36 offset1:17
	ds_write2_b32 v64, v37, v38 offset1:17
	v_pack_b32_f16 v29, v75, v77
	v_pack_b32_f16 v30, v30, v31
	;; [unrolled: 1-line block ×10, first 2 shown]
	ds_write2_b32 v58, v29, v30 offset1:17
	ds_write2_b32 v59, v31, v33 offset1:17
	;; [unrolled: 1-line block ×5, first 2 shown]
	v_add_nc_u32_e32 v31, 0x200, v48
	v_add_nc_u32_e32 v39, 0xa00, v48
	s_waitcnt lgkmcnt(0)
	s_barrier
	buffer_gl0_inv
	ds_read2_b32 v[29:30], v48 offset1:85
	ds_read2_b32 v[37:38], v31 offset0:110 offset1:195
	ds_read2_b32 v[35:36], v67 offset0:92 offset1:177
	;; [unrolled: 1-line block ×4, first 2 shown]
	s_and_saveexec_b32 s1, s0
	s_cbranch_execz .LBB0_19
; %bb.18:
	v_add_nc_u32_e32 v21, 0x280, v48
	ds_read2_b32 v[27:28], v39 offset0:6 offset1:244
	ds_read2_b32 v[21:22], v21 offset0:10 offset1:248
	ds_read_b32 v69, v48 offset:4488
	s_waitcnt lgkmcnt(2)
	v_lshrrev_b32_e32 v46, 16, v27
	v_lshrrev_b32_e32 v45, 16, v28
	s_waitcnt lgkmcnt(1)
	v_lshrrev_b32_e32 v40, 16, v21
	v_lshrrev_b32_e32 v47, 16, v22
	s_waitcnt lgkmcnt(0)
	v_lshrrev_b32_e32 v71, 16, v69
.LBB0_19:
	s_or_b32 exec_lo, exec_lo, s1
	s_waitcnt lgkmcnt(3)
	v_lshrrev_b32_e32 v52, 16, v37
	s_waitcnt lgkmcnt(2)
	v_lshrrev_b32_e32 v53, 16, v35
	;; [unrolled: 2-line block ×4, first 2 shown]
	v_mul_f16_sdwa v59, v8, v37 dst_sel:DWORD dst_unused:UNUSED_PAD src0_sel:WORD_1 src1_sel:DWORD
	v_mul_f16_sdwa v58, v8, v52 dst_sel:DWORD dst_unused:UNUSED_PAD src0_sel:WORD_1 src1_sel:DWORD
	v_lshrrev_b32_e32 v57, 16, v38
	v_lshrrev_b32_e32 v60, 16, v36
	v_mul_f16_sdwa v64, v11, v55 dst_sel:DWORD dst_unused:UNUSED_PAD src0_sel:WORD_1 src1_sel:DWORD
	v_lshrrev_b32_e32 v61, 16, v34
	v_fmac_f16_e32 v58, v8, v37
	v_fma_f16 v8, v8, v52, -v59
	v_mul_f16_sdwa v37, v9, v53 dst_sel:DWORD dst_unused:UNUSED_PAD src0_sel:WORD_1 src1_sel:DWORD
	v_mul_f16_sdwa v59, v10, v54 dst_sel:DWORD dst_unused:UNUSED_PAD src0_sel:WORD_1 src1_sel:DWORD
	;; [unrolled: 1-line block ×3, first 2 shown]
	v_fmac_f16_e32 v64, v11, v31
	v_mul_f16_sdwa v31, v11, v31 dst_sel:DWORD dst_unused:UNUSED_PAD src0_sel:WORD_1 src1_sel:DWORD
	v_fmac_f16_e32 v37, v9, v35
	v_fmac_f16_e32 v59, v10, v33
	v_lshrrev_b32_e32 v62, 16, v32
	v_mul_f16_sdwa v63, v10, v33 dst_sel:DWORD dst_unused:UNUSED_PAD src0_sel:WORD_1 src1_sel:DWORD
	v_fma_f16 v9, v9, v53, -v52
	v_mul_f16_sdwa v33, v4, v57 dst_sel:DWORD dst_unused:UNUSED_PAD src0_sel:WORD_1 src1_sel:DWORD
	v_mul_f16_sdwa v35, v4, v38 dst_sel:DWORD dst_unused:UNUSED_PAD src0_sel:WORD_1 src1_sel:DWORD
	;; [unrolled: 1-line block ×4, first 2 shown]
	v_fma_f16 v11, v11, v55, -v31
	v_add_f16_e32 v31, v37, v59
	v_fma_f16 v10, v10, v54, -v63
	v_fmac_f16_e32 v33, v4, v38
	v_fma_f16 v4, v4, v57, -v35
	v_fmac_f16_e32 v52, v5, v36
	v_fma_f16 v5, v5, v60, -v53
	v_mul_f16_sdwa v35, v6, v61 dst_sel:DWORD dst_unused:UNUSED_PAD src0_sel:WORD_1 src1_sel:DWORD
	v_mul_f16_sdwa v36, v6, v34 dst_sel:DWORD dst_unused:UNUSED_PAD src0_sel:WORD_1 src1_sel:DWORD
	;; [unrolled: 1-line block ×3, first 2 shown]
	v_add_f16_e32 v53, v29, v58
	v_fma_f16 v31, -0.5, v31, v29
	v_sub_f16_e32 v54, v8, v11
	v_lshrrev_b32_e32 v51, 16, v29
	v_fmac_f16_e32 v35, v6, v34
	v_fma_f16 v6, v6, v61, -v36
	v_fmac_f16_e32 v38, v7, v32
	v_add_f16_e32 v34, v53, v37
	v_fmamk_f16 v36, v54, 0xbb9c, v31
	v_sub_f16_e32 v53, v9, v10
	v_sub_f16_e32 v55, v58, v37
	;; [unrolled: 1-line block ×3, first 2 shown]
	v_add_f16_e32 v60, v58, v64
	v_mul_f16_sdwa v32, v7, v32 dst_sel:DWORD dst_unused:UNUSED_PAD src0_sel:WORD_1 src1_sel:DWORD
	v_fmac_f16_e32 v31, 0x3b9c, v54
	v_add_f16_e32 v34, v34, v59
	v_fmac_f16_e32 v36, 0xb8b4, v53
	v_add_f16_e32 v55, v55, v57
	v_fma_f16 v29, -0.5, v60, v29
	v_fma_f16 v7, v7, v62, -v32
	v_sub_f16_e32 v57, v37, v58
	v_sub_f16_e32 v60, v59, v64
	v_fmac_f16_e32 v31, 0x38b4, v53
	v_add_f16_e32 v61, v51, v8
	v_add_f16_e32 v62, v9, v10
	;; [unrolled: 1-line block ×3, first 2 shown]
	v_fmac_f16_e32 v36, 0x34f2, v55
	v_fmamk_f16 v34, v53, 0x3b9c, v29
	v_add_f16_e32 v57, v57, v60
	v_fmac_f16_e32 v29, 0xbb9c, v53
	v_add_f16_e32 v53, v61, v9
	v_fma_f16 v60, -0.5, v62, v51
	v_sub_f16_e32 v58, v58, v64
	v_fmac_f16_e32 v31, 0x34f2, v55
	v_add_f16_e32 v55, v8, v11
	v_fmac_f16_e32 v34, 0xb8b4, v54
	v_fmac_f16_e32 v29, 0x38b4, v54
	v_add_f16_e32 v53, v53, v10
	v_fmamk_f16 v54, v58, 0x3b9c, v60
	v_sub_f16_e32 v37, v37, v59
	v_sub_f16_e32 v59, v8, v9
	;; [unrolled: 1-line block ×3, first 2 shown]
	v_fmac_f16_e32 v51, -0.5, v55
	v_fmac_f16_e32 v60, 0xbb9c, v58
	v_sub_f16_e32 v8, v9, v8
	v_sub_f16_e32 v9, v10, v11
	v_add_f16_e32 v10, v52, v35
	v_fmac_f16_e32 v34, 0x34f2, v57
	v_fmac_f16_e32 v29, 0x34f2, v57
	v_add_f16_e32 v53, v53, v11
	v_fmac_f16_e32 v54, 0x38b4, v37
	v_add_f16_e32 v55, v59, v61
	v_fmamk_f16 v57, v37, 0xbb9c, v51
	v_fmac_f16_e32 v60, 0xb8b4, v37
	v_add_f16_e32 v8, v8, v9
	v_fmac_f16_e32 v51, 0x3b9c, v37
	v_add_f16_e32 v9, v30, v33
	v_fma_f16 v10, -0.5, v10, v30
	v_sub_f16_e32 v11, v4, v7
	v_fmac_f16_e32 v54, 0x34f2, v55
	v_fmac_f16_e32 v57, 0x38b4, v58
	;; [unrolled: 1-line block ×4, first 2 shown]
	v_add_f16_e32 v9, v9, v52
	v_fmamk_f16 v37, v11, 0xbb9c, v10
	v_sub_f16_e32 v55, v5, v6
	v_sub_f16_e32 v58, v33, v52
	;; [unrolled: 1-line block ×3, first 2 shown]
	v_fmac_f16_e32 v10, 0x3b9c, v11
	v_add_f16_e32 v61, v33, v38
	v_lshrrev_b32_e32 v56, 16, v30
	v_add_f16_e32 v9, v9, v35
	v_fmac_f16_e32 v37, 0xb8b4, v55
	v_add_f16_e32 v58, v58, v59
	v_fmac_f16_e32 v10, 0x38b4, v55
	v_fmac_f16_e32 v30, -0.5, v61
	v_sub_f16_e32 v59, v52, v33
	v_sub_f16_e32 v61, v35, v38
	v_fmac_f16_e32 v57, 0x34f2, v8
	v_fmac_f16_e32 v51, 0x34f2, v8
	v_add_f16_e32 v8, v9, v38
	v_fmac_f16_e32 v37, 0x34f2, v58
	v_fmac_f16_e32 v10, 0x34f2, v58
	v_fmamk_f16 v9, v55, 0x3b9c, v30
	v_add_f16_e32 v58, v5, v6
	v_fmac_f16_e32 v30, 0xbb9c, v55
	v_sub_f16_e32 v33, v33, v38
	v_add_f16_e32 v38, v59, v61
	v_add_f16_e32 v59, v4, v7
	;; [unrolled: 1-line block ×3, first 2 shown]
	v_fma_f16 v58, -0.5, v58, v56
	v_fmac_f16_e32 v9, 0xb8b4, v11
	v_fmac_f16_e32 v30, 0x38b4, v11
	v_sub_f16_e32 v35, v52, v35
	v_fmac_f16_e32 v56, -0.5, v59
	v_add_f16_e32 v11, v55, v5
	v_fmamk_f16 v55, v33, 0x3b9c, v58
	v_fmac_f16_e32 v9, 0x34f2, v38
	v_fmac_f16_e32 v30, 0x34f2, v38
	v_sub_f16_e32 v38, v4, v5
	v_sub_f16_e32 v52, v7, v6
	v_fmac_f16_e32 v58, 0xbb9c, v33
	v_fmamk_f16 v59, v35, 0xbb9c, v56
	v_sub_f16_e32 v4, v5, v4
	v_sub_f16_e32 v5, v6, v7
	v_fmac_f16_e32 v56, 0x3b9c, v35
	v_add_f16_e32 v11, v11, v6
	v_fmac_f16_e32 v55, 0x38b4, v35
	v_add_f16_e32 v6, v38, v52
	v_fmac_f16_e32 v58, 0xb8b4, v35
	v_fmac_f16_e32 v59, 0x38b4, v33
	v_add_f16_e32 v4, v4, v5
	v_fmac_f16_e32 v56, 0xb8b4, v33
	v_add_f16_e32 v5, v11, v7
	v_fmac_f16_e32 v55, 0x34f2, v6
	v_fmac_f16_e32 v58, 0x34f2, v6
	v_pack_b32_f16 v6, v32, v53
	v_pack_b32_f16 v7, v36, v54
	v_fmac_f16_e32 v59, 0x34f2, v4
	v_fmac_f16_e32 v56, 0x34f2, v4
	v_add_nc_u32_e32 v39, 0x154, v44
	s_barrier
	buffer_gl0_inv
	ds_write2_b32 v66, v6, v7 offset1:34
	v_pack_b32_f16 v4, v34, v57
	v_pack_b32_f16 v6, v29, v51
	;; [unrolled: 1-line block ×8, first 2 shown]
	ds_write2_b32 v66, v4, v6 offset0:68 offset1:102
	ds_write_b32 v66, v7 offset:544
	ds_write2_b32 v65, v5, v8 offset1:34
	ds_write2_b32 v65, v9, v11 offset0:68 offset1:102
	ds_write_b32 v65, v10 offset:544
	s_and_saveexec_b32 s1, s0
	s_cbranch_execz .LBB0_21
; %bb.20:
	v_mul_f16_sdwa v4, v0, v22 dst_sel:DWORD dst_unused:UNUSED_PAD src0_sel:WORD_1 src1_sel:DWORD
	v_mul_f16_sdwa v6, v3, v69 dst_sel:DWORD dst_unused:UNUSED_PAD src0_sel:WORD_1 src1_sel:DWORD
	;; [unrolled: 1-line block ×7, first 2 shown]
	v_fma_f16 v4, v0, v47, -v4
	v_mul_f16_sdwa v9, v2, v45 dst_sel:DWORD dst_unused:UNUSED_PAD src0_sel:WORD_1 src1_sel:DWORD
	v_fma_f16 v6, v3, v71, -v6
	v_fmac_f16_e32 v10, v0, v22
	v_fmac_f16_e32 v11, v3, v69
	;; [unrolled: 1-line block ×4, first 2 shown]
	v_add_f16_e32 v27, v6, v4
	v_fma_f16 v0, v1, v46, -v5
	v_fma_f16 v1, v2, v45, -v7
	v_add_f16_e32 v5, v11, v10
	v_sub_f16_e32 v2, v8, v9
	v_fma_f16 v3, -0.5, v27, v40
	v_sub_f16_e32 v7, v0, v4
	v_sub_f16_e32 v28, v0, v1
	v_fma_f16 v5, -0.5, v5, v21
	v_sub_f16_e32 v22, v1, v6
	v_fmamk_f16 v27, v2, 0x3b9c, v3
	v_sub_f16_e32 v29, v10, v11
	v_sub_f16_e32 v30, v8, v10
	;; [unrolled: 1-line block ×4, first 2 shown]
	v_fmamk_f16 v33, v28, 0xbb9c, v5
	v_fmac_f16_e32 v3, 0xbb9c, v2
	v_fmac_f16_e32 v5, 0x3b9c, v28
	v_add_f16_e32 v7, v22, v7
	v_fmac_f16_e32 v27, 0xb8b4, v29
	v_add_f16_e32 v22, v31, v30
	;; [unrolled: 2-line block ×3, first 2 shown]
	v_fmac_f16_e32 v3, 0x38b4, v29
	v_fmac_f16_e32 v5, 0xb8b4, v32
	v_sub_f16_e32 v31, v4, v0
	v_sub_f16_e32 v34, v6, v1
	v_add_f16_e32 v35, v9, v8
	v_fmac_f16_e32 v27, 0x34f2, v7
	v_fmac_f16_e32 v33, 0x34f2, v22
	v_fma_f16 v30, -0.5, v30, v40
	v_fmac_f16_e32 v3, 0x34f2, v7
	v_fmac_f16_e32 v5, 0x34f2, v22
	v_add_f16_e32 v7, v34, v31
	v_fma_f16 v22, -0.5, v35, v21
	v_sub_f16_e32 v31, v10, v8
	v_add_f16_e32 v4, v4, v40
	v_add_f16_e32 v10, v21, v10
	v_fmamk_f16 v36, v29, 0x3b9c, v30
	v_sub_f16_e32 v34, v11, v9
	v_fmamk_f16 v35, v32, 0xbb9c, v22
	v_add_f16_e32 v0, v0, v4
	v_mov_b32_e32 v21, 0xaa
	v_add_f16_e32 v8, v8, v10
	v_fmac_f16_e32 v30, 0xbb9c, v29
	v_fmac_f16_e32 v22, 0x3b9c, v32
	v_fmac_f16_e32 v36, 0x38b4, v2
	v_add_f16_e32 v4, v34, v31
	v_fmac_f16_e32 v35, 0xb8b4, v28
	v_add_f16_e32 v0, v1, v0
	v_mul_u32_u24_sdwa v1, v49, v21 dst_sel:DWORD dst_unused:UNUSED_PAD src0_sel:WORD_0 src1_sel:DWORD
	v_add_f16_e32 v8, v9, v8
	v_fmac_f16_e32 v30, 0xb8b4, v2
	v_fmac_f16_e32 v22, 0x38b4, v28
	;; [unrolled: 1-line block ×3, first 2 shown]
	v_add_f16_e32 v0, v6, v0
	v_add_nc_u32_sdwa v1, v1, v50 dst_sel:DWORD dst_unused:UNUSED_PAD src0_sel:DWORD src1_sel:BYTE_0
	v_add_f16_e32 v2, v11, v8
	v_fmac_f16_e32 v35, 0x34f2, v4
	v_fmac_f16_e32 v30, 0x34f2, v7
	;; [unrolled: 1-line block ×3, first 2 shown]
	v_lshl_add_u32 v1, v1, 2, v43
	v_pack_b32_f16 v0, v2, v0
	v_pack_b32_f16 v2, v35, v36
	v_pack_b32_f16 v3, v5, v3
	v_pack_b32_f16 v4, v33, v27
	v_pack_b32_f16 v5, v22, v30
	ds_write2_b32 v1, v0, v2 offset1:34
	ds_write2_b32 v1, v3, v4 offset0:68 offset1:102
	ds_write_b32 v1, v5 offset:544
.LBB0_21:
	s_or_b32 exec_lo, exec_lo, s1
	s_waitcnt lgkmcnt(0)
	s_barrier
	buffer_gl0_inv
	ds_read2_b32 v[0:1], v48 offset0:170 offset1:255
	v_add_nc_u32_e32 v2, 0x400, v48
	v_add_nc_u32_e32 v4, 0x600, v48
	;; [unrolled: 1-line block ×5, first 2 shown]
	ds_read2_b32 v[2:3], v2 offset0:84 offset1:169
	ds_read2_b32 v[4:5], v4 offset0:126 offset1:211
	;; [unrolled: 1-line block ×5, first 2 shown]
	ds_read2_b32 v[21:22], v48 offset1:85
	s_waitcnt lgkmcnt(6)
	v_lshrrev_b32_e32 v27, 16, v0
	s_waitcnt lgkmcnt(5)
	v_lshrrev_b32_e32 v30, 16, v2
	v_mul_f16_sdwa v29, v16, v0 dst_sel:DWORD dst_unused:UNUSED_PAD src0_sel:WORD_1 src1_sel:DWORD
	s_waitcnt lgkmcnt(4)
	v_lshrrev_b32_e32 v31, 16, v4
	s_waitcnt lgkmcnt(3)
	v_lshrrev_b32_e32 v32, 16, v6
	;; [unrolled: 2-line block ×3, first 2 shown]
	v_mul_f16_sdwa v40, v16, v27 dst_sel:DWORD dst_unused:UNUSED_PAD src0_sel:WORD_1 src1_sel:DWORD
	v_mul_f16_sdwa v43, v17, v2 dst_sel:DWORD dst_unused:UNUSED_PAD src0_sel:WORD_1 src1_sel:DWORD
	;; [unrolled: 1-line block ×3, first 2 shown]
	v_lshrrev_b32_e32 v28, 16, v1
	s_waitcnt lgkmcnt(1)
	v_lshrrev_b32_e32 v34, 16, v10
	v_fma_f16 v27, v16, v27, -v29
	v_fmac_f16_e32 v40, v16, v0
	v_fma_f16 v0, v17, v30, -v43
	v_mul_f16_sdwa v16, v18, v31 dst_sel:DWORD dst_unused:UNUSED_PAD src0_sel:WORD_1 src1_sel:DWORD
	v_fmac_f16_e32 v46, v17, v2
	v_mul_f16_sdwa v2, v18, v4 dst_sel:DWORD dst_unused:UNUSED_PAD src0_sel:WORD_1 src1_sel:DWORD
	v_mul_f16_sdwa v17, v19, v32 dst_sel:DWORD dst_unused:UNUSED_PAD src0_sel:WORD_1 src1_sel:DWORD
	;; [unrolled: 1-line block ×4, first 2 shown]
	v_lshrrev_b32_e32 v35, 16, v3
	v_lshrrev_b32_e32 v36, 16, v5
	;; [unrolled: 1-line block ×3, first 2 shown]
	v_fmac_f16_e32 v16, v18, v4
	v_fma_f16 v2, v18, v31, -v2
	v_fmac_f16_e32 v17, v19, v6
	v_fma_f16 v4, v19, v32, -v29
	v_fmac_f16_e32 v30, v23, v8
	v_mul_f16_sdwa v6, v23, v8 dst_sel:DWORD dst_unused:UNUSED_PAD src0_sel:WORD_1 src1_sel:DWORD
	v_mul_f16_sdwa v8, v24, v34 dst_sel:DWORD dst_unused:UNUSED_PAD src0_sel:WORD_1 src1_sel:DWORD
	;; [unrolled: 1-line block ×5, first 2 shown]
	v_lshrrev_b32_e32 v38, 16, v9
	v_lshrrev_b32_e32 v45, 16, v11
	v_fma_f16 v6, v23, v33, -v6
	v_fmac_f16_e32 v8, v24, v10
	v_fma_f16 v10, v24, v34, -v18
	v_fmac_f16_e32 v19, v12, v1
	v_fma_f16 v1, v12, v28, -v29
	v_mul_f16_sdwa v12, v13, v35 dst_sel:DWORD dst_unused:UNUSED_PAD src0_sel:WORD_1 src1_sel:DWORD
	v_mul_f16_sdwa v18, v13, v3 dst_sel:DWORD dst_unused:UNUSED_PAD src0_sel:WORD_1 src1_sel:DWORD
	v_mul_f16_sdwa v23, v14, v36 dst_sel:DWORD dst_unused:UNUSED_PAD src0_sel:WORD_1 src1_sel:DWORD
	v_mul_f16_sdwa v24, v14, v5 dst_sel:DWORD dst_unused:UNUSED_PAD src0_sel:WORD_1 src1_sel:DWORD
	v_mul_f16_sdwa v28, v15, v37 dst_sel:DWORD dst_unused:UNUSED_PAD src0_sel:WORD_1 src1_sel:DWORD
	v_fmac_f16_e32 v12, v13, v3
	v_fma_f16 v3, v13, v35, -v18
	v_fmac_f16_e32 v23, v14, v5
	v_fma_f16 v5, v14, v36, -v24
	v_fmac_f16_e32 v28, v15, v7
	v_mul_f16_sdwa v7, v15, v7 dst_sel:DWORD dst_unused:UNUSED_PAD src0_sel:WORD_1 src1_sel:DWORD
	v_mul_f16_sdwa v13, v25, v38 dst_sel:DWORD dst_unused:UNUSED_PAD src0_sel:WORD_1 src1_sel:DWORD
	;; [unrolled: 1-line block ×5, first 2 shown]
	v_fma_f16 v7, v15, v37, -v7
	v_fmac_f16_e32 v13, v25, v9
	v_fma_f16 v9, v25, v38, -v14
	v_fmac_f16_e32 v18, v26, v11
	v_fma_f16 v11, v26, v45, -v24
	v_add_f16_e32 v14, v40, v8
	v_add_f16_e32 v15, v27, v10
	;; [unrolled: 1-line block ×4, first 2 shown]
	v_sub_f16_e32 v8, v40, v8
	v_sub_f16_e32 v10, v27, v10
	;; [unrolled: 1-line block ×4, first 2 shown]
	v_add_f16_e32 v6, v16, v17
	v_add_f16_e32 v27, v2, v4
	v_sub_f16_e32 v16, v17, v16
	v_sub_f16_e32 v2, v4, v2
	v_add_f16_e32 v4, v24, v14
	v_add_f16_e32 v17, v25, v15
	v_sub_f16_e32 v29, v24, v14
	v_sub_f16_e32 v30, v25, v15
	;; [unrolled: 1-line block ×6, first 2 shown]
	v_add_f16_e32 v31, v16, v26
	v_add_f16_e32 v32, v2, v0
	v_sub_f16_e32 v33, v16, v26
	v_sub_f16_e32 v34, v2, v0
	;; [unrolled: 1-line block ×3, first 2 shown]
	v_add_f16_e32 v4, v6, v4
	v_add_f16_e32 v6, v27, v17
	v_sub_f16_e32 v0, v0, v10
	v_sub_f16_e32 v16, v8, v16
	;; [unrolled: 1-line block ×3, first 2 shown]
	v_add_f16_e32 v8, v31, v8
	v_add_f16_e32 v10, v32, v10
	s_waitcnt lgkmcnt(0)
	v_add_f16_e32 v17, v21, v4
	v_add_f16_sdwa v21, v21, v6 dst_sel:DWORD dst_unused:UNUSED_PAD src0_sel:WORD_1 src1_sel:DWORD
	v_mul_f16_e32 v14, 0x3a52, v14
	v_mul_f16_e32 v15, 0x3a52, v15
	;; [unrolled: 1-line block ×8, first 2 shown]
	v_fmamk_f16 v4, v4, 0xbcab, v17
	v_fmamk_f16 v6, v6, 0xbcab, v21
	;; [unrolled: 1-line block ×4, first 2 shown]
	v_fma_f16 v27, v29, 0x39e0, -v27
	v_fma_f16 v31, v30, 0x39e0, -v31
	;; [unrolled: 1-line block ×4, first 2 shown]
	v_fmamk_f16 v29, v16, 0xb574, v32
	v_fmamk_f16 v30, v2, 0xb574, v33
	v_fma_f16 v0, v0, 0xbb00, -v33
	v_fma_f16 v16, v16, 0x3574, -v34
	;; [unrolled: 1-line block ×4, first 2 shown]
	v_add_f16_e32 v24, v24, v4
	v_add_f16_e32 v25, v25, v6
	;; [unrolled: 1-line block ×6, first 2 shown]
	v_fmac_f16_e32 v30, 0xb70e, v10
	v_fmac_f16_e32 v2, 0xb70e, v10
	;; [unrolled: 1-line block ×6, first 2 shown]
	v_add_f16_e32 v8, v30, v24
	v_add_f16_e32 v14, v2, v4
	v_sub_f16_e32 v15, v6, v16
	v_sub_f16_e32 v32, v27, v0
	v_add_f16_e32 v27, v0, v27
	v_sub_f16_e32 v2, v4, v2
	v_add_f16_e32 v4, v16, v6
	;; [unrolled: 2-line block ×3, first 2 shown]
	v_add_f16_e32 v24, v1, v11
	v_sub_f16_e32 v1, v1, v11
	v_add_f16_e32 v11, v12, v13
	v_sub_f16_e32 v18, v19, v18
	;; [unrolled: 2-line block ×3, first 2 shown]
	v_sub_f16_e32 v3, v3, v9
	v_add_f16_e32 v9, v23, v28
	v_add_f16_e32 v13, v5, v7
	v_sub_f16_e32 v23, v28, v23
	v_sub_f16_e32 v5, v7, v5
	v_add_f16_e32 v7, v11, v0
	v_sub_f16_e32 v10, v25, v29
	v_add_f16_e32 v16, v29, v25
	v_add_f16_e32 v25, v19, v24
	;; [unrolled: 1-line block ×3, first 2 shown]
	v_sub_f16_e32 v26, v31, v26
	v_sub_f16_e32 v28, v11, v0
	;; [unrolled: 1-line block ×6, first 2 shown]
	v_add_f16_e32 v30, v23, v12
	v_add_f16_e32 v31, v5, v3
	v_sub_f16_e32 v34, v23, v12
	v_sub_f16_e32 v35, v5, v3
	v_add_f16_e32 v7, v9, v7
	v_sub_f16_e32 v3, v3, v1
	v_sub_f16_e32 v11, v9, v11
	;; [unrolled: 1-line block ×3, first 2 shown]
	v_add_f16_e32 v9, v13, v25
	v_sub_f16_e32 v23, v18, v23
	v_sub_f16_e32 v5, v1, v5
	v_add_f16_e32 v13, v30, v18
	v_add_f16_e32 v1, v31, v1
	;; [unrolled: 1-line block ×3, first 2 shown]
	v_mul_f16_e32 v0, 0x3a52, v0
	v_mul_f16_e32 v24, 0x3a52, v24
	v_mul_f16_e32 v30, 0x2b26, v19
	v_mul_f16_e32 v31, 0x3846, v34
	v_mul_f16_e32 v34, 0x3846, v35
	v_mul_f16_e32 v36, 0xbb00, v3
	v_add_f16_sdwa v22, v22, v9 dst_sel:DWORD dst_unused:UNUSED_PAD src0_sel:WORD_1 src1_sel:DWORD
	v_mul_f16_e32 v25, 0x2b26, v11
	v_mul_f16_e32 v35, 0xbb00, v12
	v_fmamk_f16 v7, v7, 0xbcab, v18
	v_fmamk_f16 v11, v11, 0x2b26, v0
	;; [unrolled: 1-line block ×3, first 2 shown]
	v_fma_f16 v30, v29, 0x39e0, -v30
	v_fma_f16 v0, v28, 0xb9e0, -v0
	;; [unrolled: 1-line block ×3, first 2 shown]
	v_fmamk_f16 v29, v5, 0xb574, v34
	v_fma_f16 v5, v5, 0x3574, -v36
	v_fmamk_f16 v9, v9, 0xbcab, v22
	v_fma_f16 v25, v28, 0x39e0, -v25
	;; [unrolled: 2-line block ×3, first 2 shown]
	v_fma_f16 v12, v12, 0xbb00, -v31
	v_fma_f16 v3, v3, 0xbb00, -v34
	v_add_f16_e32 v0, v0, v7
	v_fmac_f16_e32 v5, 0xb70e, v1
	v_add_f16_e32 v11, v11, v7
	v_add_f16_e32 v19, v19, v9
	;; [unrolled: 1-line block ×4, first 2 shown]
	v_fmac_f16_e32 v28, 0xb70e, v13
	v_fmac_f16_e32 v29, 0xb70e, v1
	;; [unrolled: 1-line block ×3, first 2 shown]
	v_add_f16_e32 v30, v30, v9
	v_fmac_f16_e32 v12, 0xb70e, v13
	v_fmac_f16_e32 v3, 0xb70e, v1
	v_add_f16_e32 v13, v5, v0
	v_sub_f16_e32 v5, v0, v5
	v_pack_b32_f16 v17, v17, v21
	v_pack_b32_f16 v14, v14, v15
	;; [unrolled: 1-line block ×3, first 2 shown]
	v_add_nc_u32_e32 v0, 0x400, v44
	v_pack_b32_f16 v21, v27, v26
	v_pack_b32_f16 v2, v2, v4
	v_add_nc_u32_e32 v4, 0xa00, v44
	v_add_f16_e32 v1, v29, v11
	v_sub_f16_e32 v9, v19, v28
	v_sub_f16_e32 v24, v7, v23
	;; [unrolled: 1-line block ×3, first 2 shown]
	v_add_f16_e32 v34, v12, v30
	v_add_f16_e32 v3, v3, v25
	v_sub_f16_e32 v12, v30, v12
	v_add_f16_e32 v7, v23, v7
	v_sub_f16_e32 v11, v11, v29
	v_add_f16_e32 v19, v28, v19
	ds_write_b32 v44, v17
	ds_write2_b32 v0, v14, v15 offset0:84 offset1:254
	ds_write2_b32 v4, v21, v2 offset0:40 offset1:210
	v_pack_b32_f16 v2, v6, v16
	v_pack_b32_f16 v8, v8, v10
	;; [unrolled: 1-line block ×5, first 2 shown]
	v_add_nc_u32_e32 v9, 0x200, v39
	v_pack_b32_f16 v10, v31, v34
	v_pack_b32_f16 v3, v3, v12
	v_add_nc_u32_e32 v12, 0x700, v39
	v_pack_b32_f16 v5, v5, v7
	v_pack_b32_f16 v7, v11, v19
	v_add_nc_u32_e32 v11, 0xc00, v39
	ds_write_b32 v44, v2 offset:4080
	ds_write2_b32 v44, v4, v8 offset0:85 offset1:170
	ds_write2_b32 v9, v1, v6 offset0:42 offset1:212
	;; [unrolled: 1-line block ×4, first 2 shown]
	s_waitcnt lgkmcnt(0)
	s_barrier
	buffer_gl0_inv
	s_and_b32 exec_lo, exec_lo, vcc_lo
	s_cbranch_execz .LBB0_23
; %bb.22:
	global_load_dword v1, v41, s[8:9]
	ds_read_b32 v2, v44
	s_mov_b32 s12, 0x1b89401c
	s_mov_b32 s13, 0x3f4b8940
	v_mad_u64_u32 v[7:8], null, s4, v42, 0
	s_mul_hi_u32 s3, s4, 0x118
	s_mulk_i32 s4, 0x118
	s_waitcnt lgkmcnt(0)
	v_lshrrev_b32_e32 v3, 16, v2
	s_waitcnt vmcnt(0)
	v_mul_f16_sdwa v4, v3, v1 dst_sel:DWORD dst_unused:UNUSED_PAD src0_sel:DWORD src1_sel:WORD_1
	v_mul_f16_sdwa v5, v2, v1 dst_sel:DWORD dst_unused:UNUSED_PAD src0_sel:DWORD src1_sel:WORD_1
	v_fmac_f16_e32 v4, v2, v1
	v_fma_f16 v1, v1, v3, -v5
	v_mad_u64_u32 v[5:6], null, s6, v20, 0
	v_cvt_f32_f16_e32 v2, v4
	v_cvt_f32_f16_e32 v3, v1
	v_cvt_f64_f32_e32 v[1:2], v2
	v_cvt_f64_f32_e32 v[3:4], v3
	v_mul_f64 v[1:2], v[1:2], s[12:13]
	v_mul_f64 v[3:4], v[3:4], s[12:13]
	v_and_or_b32 v1, 0x1ff, v2, v1
	v_and_or_b32 v3, 0x1ff, v4, v3
	v_lshrrev_b32_e32 v9, 8, v2
	v_bfe_u32 v11, v2, 20, 11
	v_lshrrev_b32_e32 v10, 8, v4
	v_cmp_ne_u32_e32 vcc_lo, 0, v1
	v_bfe_u32 v12, v4, 20, 11
	v_mov_b32_e32 v1, v8
	v_sub_nc_u32_e32 v14, 0x3f1, v11
	v_add_nc_u32_e32 v11, 0xfffffc10, v11
	v_cndmask_b32_e64 v13, 0, 1, vcc_lo
	v_cmp_ne_u32_e32 vcc_lo, 0, v3
	v_sub_nc_u32_e32 v15, 0x3f1, v12
	v_med3_i32 v14, v14, 0, 13
	v_add_nc_u32_e32 v12, 0xfffffc10, v12
	v_and_or_b32 v13, 0xffe, v9, v13
	v_cndmask_b32_e64 v3, 0, 1, vcc_lo
	v_mad_u64_u32 v[8:9], null, s7, v20, v[6:7]
	v_med3_i32 v15, v15, 0, 13
	v_or_b32_e32 v16, 0x1000, v13
	v_and_or_b32 v3, 0xffe, v10, v3
	v_mad_u64_u32 v[9:10], null, s5, v42, v[1:2]
	v_lshrrev_b32_e32 v4, 16, v4
	v_lshrrev_b32_e32 v1, v14, v16
	v_or_b32_e32 v17, 0x1000, v3
	v_mov_b32_e32 v6, v8
	v_mov_b32_e32 v8, v9
	v_lshrrev_b32_e32 v10, v15, v17
	v_lshlrev_b32_e32 v14, v14, v1
	v_lshlrev_b64 v[5:6], 2, v[5:6]
	v_lshlrev_b32_e32 v9, v15, v10
	v_cmp_ne_u32_e32 vcc_lo, v14, v16
	v_lshl_or_b32 v15, v11, 12, v13
	v_cndmask_b32_e64 v14, 0, 1, vcc_lo
	v_cmp_ne_u32_e32 vcc_lo, v9, v17
	v_or_b32_e32 v1, v1, v14
	v_cndmask_b32_e64 v9, 0, 1, vcc_lo
	v_cmp_gt_i32_e32 vcc_lo, 1, v11
	v_lshl_or_b32 v14, v12, 12, v3
	v_or_b32_e32 v9, v10, v9
	v_cndmask_b32_e32 v1, v15, v1, vcc_lo
	v_cmp_gt_i32_e32 vcc_lo, 1, v12
	v_lshrrev_b32_e32 v10, 16, v2
	v_cndmask_b32_e32 v2, v14, v9, vcc_lo
	v_cmp_ne_u32_e32 vcc_lo, 0, v13
	v_and_b32_e32 v13, 7, v1
	v_lshrrev_b32_e32 v1, 2, v1
	v_and_b32_e32 v14, 7, v2
	v_cndmask_b32_e64 v9, 0, 1, vcc_lo
	v_cmp_ne_u32_e32 vcc_lo, 0, v3
	v_cmp_eq_u32_e64 s0, 3, v13
	v_lshrrev_b32_e32 v2, 2, v2
	v_cmp_lt_i32_e64 s1, 5, v14
	v_cmp_eq_u32_e64 s2, 3, v14
	v_cndmask_b32_e64 v3, 0, 1, vcc_lo
	v_cmp_lt_i32_e32 vcc_lo, 5, v13
	v_lshl_or_b32 v9, v9, 9, 0x7c00
	v_lshl_or_b32 v3, v3, 9, 0x7c00
	s_or_b32 vcc_lo, s0, vcc_lo
	v_add_co_ci_u32_e32 v1, vcc_lo, 0, v1, vcc_lo
	s_or_b32 vcc_lo, s2, s1
	v_add_co_ci_u32_e32 v2, vcc_lo, 0, v2, vcc_lo
	v_cmp_gt_i32_e32 vcc_lo, 31, v11
	v_cndmask_b32_e32 v1, 0x7c00, v1, vcc_lo
	v_cmp_gt_i32_e32 vcc_lo, 31, v12
	v_cndmask_b32_e32 v13, 0x7c00, v2, vcc_lo
	v_cmp_eq_u32_e32 vcc_lo, 0x40f, v11
	v_cndmask_b32_e32 v9, v1, v9, vcc_lo
	v_cmp_eq_u32_e32 vcc_lo, 0x40f, v12
	v_lshlrev_b64 v[1:2], 2, v[7:8]
	v_and_or_b32 v7, 0x8000, v10, v9
	v_cndmask_b32_e32 v3, v13, v3, vcc_lo
	v_add_co_u32 v5, vcc_lo, s10, v5
	v_add_co_ci_u32_e32 v6, vcc_lo, s11, v6, vcc_lo
	v_and_or_b32 v3, 0x8000, v4, v3
	v_and_b32_e32 v4, 0xffff, v7
	v_add_co_u32 v1, vcc_lo, v5, v1
	v_add_co_ci_u32_e32 v2, vcc_lo, v6, v2, vcc_lo
	v_lshl_or_b32 v3, v3, 16, v4
	global_store_dword v[1:2], v3, off
	global_load_dword v5, v41, s[8:9] offset:280
	ds_read2_b32 v[3:4], v44 offset0:70 offset1:140
	s_waitcnt lgkmcnt(0)
	v_lshrrev_b32_e32 v6, 16, v3
	s_waitcnt vmcnt(0)
	v_mul_f16_sdwa v7, v6, v5 dst_sel:DWORD dst_unused:UNUSED_PAD src0_sel:DWORD src1_sel:WORD_1
	v_mul_f16_sdwa v8, v3, v5 dst_sel:DWORD dst_unused:UNUSED_PAD src0_sel:DWORD src1_sel:WORD_1
	v_fmac_f16_e32 v7, v3, v5
	v_fma_f16 v3, v5, v6, -v8
	v_cvt_f32_f16_e32 v5, v7
	v_cvt_f32_f16_e32 v3, v3
	v_cvt_f64_f32_e32 v[5:6], v5
	v_cvt_f64_f32_e32 v[7:8], v3
	v_mul_f64 v[5:6], v[5:6], s[12:13]
	v_mul_f64 v[7:8], v[7:8], s[12:13]
	v_and_or_b32 v3, 0x1ff, v6, v5
	v_and_or_b32 v7, 0x1ff, v8, v7
	v_lshrrev_b32_e32 v5, 8, v6
	v_bfe_u32 v9, v6, 20, 11
	v_lshrrev_b32_e32 v10, 8, v8
	v_cmp_ne_u32_e32 vcc_lo, 0, v3
	v_bfe_u32 v11, v8, 20, 11
	v_lshrrev_b32_e32 v6, 16, v6
	v_sub_nc_u32_e32 v12, 0x3f1, v9
	v_add_nc_u32_e32 v9, 0xfffffc10, v9
	v_cndmask_b32_e64 v3, 0, 1, vcc_lo
	v_cmp_ne_u32_e32 vcc_lo, 0, v7
	v_lshrrev_b32_e32 v8, 16, v8
	v_and_or_b32 v3, 0xffe, v5, v3
	v_cndmask_b32_e64 v7, 0, 1, vcc_lo
	v_sub_nc_u32_e32 v5, 0x3f1, v11
	v_add_nc_u32_e32 v11, 0xfffffc10, v11
	v_and_or_b32 v7, 0xffe, v10, v7
	v_med3_i32 v10, v12, 0, 13
	v_or_b32_e32 v12, 0x1000, v3
	v_med3_i32 v5, v5, 0, 13
	v_or_b32_e32 v13, 0x1000, v7
	v_lshrrev_b32_e32 v14, v10, v12
	v_lshrrev_b32_e32 v15, v5, v13
	v_lshlrev_b32_e32 v10, v10, v14
	v_lshlrev_b32_e32 v5, v5, v15
	v_cmp_ne_u32_e32 vcc_lo, v10, v12
	v_lshl_or_b32 v12, v9, 12, v3
	v_cndmask_b32_e64 v10, 0, 1, vcc_lo
	v_cmp_ne_u32_e32 vcc_lo, v5, v13
	v_lshl_or_b32 v13, v11, 12, v7
	v_or_b32_e32 v10, v14, v10
	v_cndmask_b32_e64 v5, 0, 1, vcc_lo
	v_cmp_gt_i32_e32 vcc_lo, 1, v9
	v_or_b32_e32 v5, v15, v5
	v_cndmask_b32_e32 v10, v12, v10, vcc_lo
	v_cmp_gt_i32_e32 vcc_lo, 1, v11
	v_and_b32_e32 v12, 7, v10
	v_cndmask_b32_e32 v5, v13, v5, vcc_lo
	v_cmp_ne_u32_e32 vcc_lo, 0, v3
	v_lshrrev_b32_e32 v10, 2, v10
	v_cmp_eq_u32_e64 s0, 3, v12
	v_and_b32_e32 v13, 7, v5
	v_cndmask_b32_e64 v3, 0, 1, vcc_lo
	v_cmp_ne_u32_e32 vcc_lo, 0, v7
	v_lshrrev_b32_e32 v5, 2, v5
	v_cmp_lt_i32_e64 s1, 5, v13
	v_cmp_eq_u32_e64 s2, 3, v13
	v_cndmask_b32_e64 v7, 0, 1, vcc_lo
	v_cmp_lt_i32_e32 vcc_lo, 5, v12
	v_lshl_or_b32 v3, v3, 9, 0x7c00
	v_lshl_or_b32 v7, v7, 9, 0x7c00
	s_or_b32 vcc_lo, s0, vcc_lo
	s_mul_i32 s0, s5, 0x118
	v_add_co_ci_u32_e32 v10, vcc_lo, 0, v10, vcc_lo
	s_or_b32 vcc_lo, s2, s1
	s_add_i32 s3, s3, s0
	v_add_co_ci_u32_e32 v5, vcc_lo, 0, v5, vcc_lo
	v_cmp_gt_i32_e32 vcc_lo, 31, v9
	v_cndmask_b32_e32 v10, 0x7c00, v10, vcc_lo
	v_cmp_gt_i32_e32 vcc_lo, 31, v11
	v_cndmask_b32_e32 v5, 0x7c00, v5, vcc_lo
	v_cmp_eq_u32_e32 vcc_lo, 0x40f, v9
	v_cndmask_b32_e32 v3, v10, v3, vcc_lo
	v_cmp_eq_u32_e32 vcc_lo, 0x40f, v11
	v_and_or_b32 v3, 0x8000, v6, v3
	v_cndmask_b32_e32 v5, v5, v7, vcc_lo
	v_add_co_u32 v1, vcc_lo, v1, s4
	v_add_co_ci_u32_e32 v2, vcc_lo, s3, v2, vcc_lo
	v_and_or_b32 v5, 0x8000, v8, v5
	v_and_b32_e32 v3, 0xffff, v3
	v_lshl_or_b32 v3, v5, 16, v3
	v_lshrrev_b32_e32 v5, 16, v4
	global_store_dword v[1:2], v3, off
	global_load_dword v3, v41, s[8:9] offset:560
	s_waitcnt vmcnt(0)
	v_mul_f16_sdwa v6, v5, v3 dst_sel:DWORD dst_unused:UNUSED_PAD src0_sel:DWORD src1_sel:WORD_1
	v_mul_f16_sdwa v7, v4, v3 dst_sel:DWORD dst_unused:UNUSED_PAD src0_sel:DWORD src1_sel:WORD_1
	v_fmac_f16_e32 v6, v4, v3
	v_fma_f16 v3, v3, v5, -v7
	v_cvt_f32_f16_e32 v4, v6
	v_cvt_f32_f16_e32 v5, v3
	v_cvt_f64_f32_e32 v[3:4], v4
	v_cvt_f64_f32_e32 v[5:6], v5
	v_mul_f64 v[3:4], v[3:4], s[12:13]
	v_mul_f64 v[5:6], v[5:6], s[12:13]
	v_and_or_b32 v3, 0x1ff, v4, v3
	v_and_or_b32 v5, 0x1ff, v6, v5
	v_lshrrev_b32_e32 v7, 8, v4
	v_bfe_u32 v8, v4, 20, 11
	v_lshrrev_b32_e32 v9, 8, v6
	v_cmp_ne_u32_e32 vcc_lo, 0, v3
	v_bfe_u32 v10, v6, 20, 11
	v_lshrrev_b32_e32 v4, 16, v4
	v_sub_nc_u32_e32 v11, 0x3f1, v8
	v_add_nc_u32_e32 v8, 0xfffffc10, v8
	v_cndmask_b32_e64 v3, 0, 1, vcc_lo
	v_cmp_ne_u32_e32 vcc_lo, 0, v5
	v_lshrrev_b32_e32 v6, 16, v6
	v_and_or_b32 v3, 0xffe, v7, v3
	v_cndmask_b32_e64 v5, 0, 1, vcc_lo
	v_sub_nc_u32_e32 v7, 0x3f1, v10
	v_add_nc_u32_e32 v10, 0xfffffc10, v10
	v_and_or_b32 v5, 0xffe, v9, v5
	v_med3_i32 v9, v11, 0, 13
	v_or_b32_e32 v11, 0x1000, v3
	v_med3_i32 v7, v7, 0, 13
	v_or_b32_e32 v12, 0x1000, v5
	v_lshrrev_b32_e32 v13, v9, v11
	v_lshrrev_b32_e32 v14, v7, v12
	v_lshlrev_b32_e32 v9, v9, v13
	v_lshlrev_b32_e32 v7, v7, v14
	v_cmp_ne_u32_e32 vcc_lo, v9, v11
	v_lshl_or_b32 v11, v8, 12, v3
	v_cndmask_b32_e64 v9, 0, 1, vcc_lo
	v_cmp_ne_u32_e32 vcc_lo, v7, v12
	v_lshl_or_b32 v12, v10, 12, v5
	v_or_b32_e32 v9, v13, v9
	v_cndmask_b32_e64 v7, 0, 1, vcc_lo
	v_cmp_gt_i32_e32 vcc_lo, 1, v8
	v_or_b32_e32 v7, v14, v7
	v_cndmask_b32_e32 v9, v11, v9, vcc_lo
	v_cmp_gt_i32_e32 vcc_lo, 1, v10
	v_and_b32_e32 v11, 7, v9
	v_cndmask_b32_e32 v7, v12, v7, vcc_lo
	v_cmp_ne_u32_e32 vcc_lo, 0, v3
	v_lshrrev_b32_e32 v9, 2, v9
	v_cmp_eq_u32_e64 s0, 3, v11
	v_and_b32_e32 v12, 7, v7
	v_cndmask_b32_e64 v3, 0, 1, vcc_lo
	v_cmp_ne_u32_e32 vcc_lo, 0, v5
	v_lshrrev_b32_e32 v7, 2, v7
	v_cmp_lt_i32_e64 s1, 5, v12
	v_cmp_eq_u32_e64 s2, 3, v12
	v_cndmask_b32_e64 v5, 0, 1, vcc_lo
	v_cmp_lt_i32_e32 vcc_lo, 5, v11
	v_lshl_or_b32 v3, v3, 9, 0x7c00
	v_lshl_or_b32 v5, v5, 9, 0x7c00
	s_or_b32 vcc_lo, s0, vcc_lo
	v_add_co_ci_u32_e32 v9, vcc_lo, 0, v9, vcc_lo
	s_or_b32 vcc_lo, s2, s1
	v_add_co_ci_u32_e32 v7, vcc_lo, 0, v7, vcc_lo
	v_cmp_gt_i32_e32 vcc_lo, 31, v8
	v_cndmask_b32_e32 v9, 0x7c00, v9, vcc_lo
	v_cmp_gt_i32_e32 vcc_lo, 31, v10
	v_cndmask_b32_e32 v7, 0x7c00, v7, vcc_lo
	v_cmp_eq_u32_e32 vcc_lo, 0x40f, v8
	v_cndmask_b32_e32 v3, v9, v3, vcc_lo
	v_cmp_eq_u32_e32 vcc_lo, 0x40f, v10
	v_and_or_b32 v3, 0x8000, v4, v3
	v_cndmask_b32_e32 v5, v7, v5, vcc_lo
	v_add_co_u32 v1, vcc_lo, v1, s4
	v_add_co_ci_u32_e32 v2, vcc_lo, s3, v2, vcc_lo
	v_and_or_b32 v4, 0x8000, v6, v5
	v_and_b32_e32 v3, 0xffff, v3
	v_lshl_or_b32 v3, v4, 16, v3
	global_store_dword v[1:2], v3, off
	global_load_dword v5, v41, s[8:9] offset:840
	v_add_nc_u32_e32 v3, 0x200, v44
	ds_read2_b32 v[3:4], v3 offset0:82 offset1:152
	s_waitcnt lgkmcnt(0)
	v_lshrrev_b32_e32 v6, 16, v3
	s_waitcnt vmcnt(0)
	v_mul_f16_sdwa v7, v6, v5 dst_sel:DWORD dst_unused:UNUSED_PAD src0_sel:DWORD src1_sel:WORD_1
	v_mul_f16_sdwa v8, v3, v5 dst_sel:DWORD dst_unused:UNUSED_PAD src0_sel:DWORD src1_sel:WORD_1
	v_fmac_f16_e32 v7, v3, v5
	v_fma_f16 v3, v5, v6, -v8
	v_cvt_f32_f16_e32 v5, v7
	v_cvt_f32_f16_e32 v3, v3
	v_cvt_f64_f32_e32 v[5:6], v5
	v_cvt_f64_f32_e32 v[7:8], v3
	v_mul_f64 v[5:6], v[5:6], s[12:13]
	v_mul_f64 v[7:8], v[7:8], s[12:13]
	v_and_or_b32 v3, 0x1ff, v6, v5
	v_and_or_b32 v7, 0x1ff, v8, v7
	v_lshrrev_b32_e32 v5, 8, v6
	v_bfe_u32 v9, v6, 20, 11
	v_lshrrev_b32_e32 v10, 8, v8
	v_cmp_ne_u32_e32 vcc_lo, 0, v3
	v_bfe_u32 v11, v8, 20, 11
	v_lshrrev_b32_e32 v6, 16, v6
	v_sub_nc_u32_e32 v12, 0x3f1, v9
	v_add_nc_u32_e32 v9, 0xfffffc10, v9
	v_cndmask_b32_e64 v3, 0, 1, vcc_lo
	v_cmp_ne_u32_e32 vcc_lo, 0, v7
	v_lshrrev_b32_e32 v8, 16, v8
	v_and_or_b32 v3, 0xffe, v5, v3
	v_cndmask_b32_e64 v7, 0, 1, vcc_lo
	v_sub_nc_u32_e32 v5, 0x3f1, v11
	v_add_nc_u32_e32 v11, 0xfffffc10, v11
	v_and_or_b32 v7, 0xffe, v10, v7
	v_med3_i32 v10, v12, 0, 13
	v_or_b32_e32 v12, 0x1000, v3
	v_med3_i32 v5, v5, 0, 13
	v_or_b32_e32 v13, 0x1000, v7
	v_lshrrev_b32_e32 v14, v10, v12
	v_lshrrev_b32_e32 v15, v5, v13
	v_lshlrev_b32_e32 v10, v10, v14
	v_lshlrev_b32_e32 v5, v5, v15
	v_cmp_ne_u32_e32 vcc_lo, v10, v12
	v_lshl_or_b32 v12, v9, 12, v3
	v_cndmask_b32_e64 v10, 0, 1, vcc_lo
	v_cmp_ne_u32_e32 vcc_lo, v5, v13
	v_lshl_or_b32 v13, v11, 12, v7
	v_or_b32_e32 v10, v14, v10
	v_cndmask_b32_e64 v5, 0, 1, vcc_lo
	v_cmp_gt_i32_e32 vcc_lo, 1, v9
	v_or_b32_e32 v5, v15, v5
	v_cndmask_b32_e32 v10, v12, v10, vcc_lo
	v_cmp_gt_i32_e32 vcc_lo, 1, v11
	v_and_b32_e32 v12, 7, v10
	v_cndmask_b32_e32 v5, v13, v5, vcc_lo
	v_cmp_ne_u32_e32 vcc_lo, 0, v3
	v_lshrrev_b32_e32 v10, 2, v10
	v_cmp_eq_u32_e64 s0, 3, v12
	v_and_b32_e32 v13, 7, v5
	v_cndmask_b32_e64 v3, 0, 1, vcc_lo
	v_cmp_ne_u32_e32 vcc_lo, 0, v7
	v_lshrrev_b32_e32 v5, 2, v5
	v_cmp_lt_i32_e64 s1, 5, v13
	v_cmp_eq_u32_e64 s2, 3, v13
	v_cndmask_b32_e64 v7, 0, 1, vcc_lo
	v_cmp_lt_i32_e32 vcc_lo, 5, v12
	v_lshl_or_b32 v3, v3, 9, 0x7c00
	v_lshl_or_b32 v7, v7, 9, 0x7c00
	s_or_b32 vcc_lo, s0, vcc_lo
	v_add_co_ci_u32_e32 v10, vcc_lo, 0, v10, vcc_lo
	s_or_b32 vcc_lo, s2, s1
	v_add_co_ci_u32_e32 v5, vcc_lo, 0, v5, vcc_lo
	v_cmp_gt_i32_e32 vcc_lo, 31, v9
	v_cndmask_b32_e32 v10, 0x7c00, v10, vcc_lo
	v_cmp_gt_i32_e32 vcc_lo, 31, v11
	v_cndmask_b32_e32 v5, 0x7c00, v5, vcc_lo
	v_cmp_eq_u32_e32 vcc_lo, 0x40f, v9
	v_cndmask_b32_e32 v3, v10, v3, vcc_lo
	v_cmp_eq_u32_e32 vcc_lo, 0x40f, v11
	v_and_or_b32 v3, 0x8000, v6, v3
	v_cndmask_b32_e32 v5, v5, v7, vcc_lo
	v_add_co_u32 v1, vcc_lo, v1, s4
	v_add_co_ci_u32_e32 v2, vcc_lo, s3, v2, vcc_lo
	v_and_or_b32 v5, 0x8000, v8, v5
	v_and_b32_e32 v3, 0xffff, v3
	v_lshl_or_b32 v3, v5, 16, v3
	v_lshrrev_b32_e32 v5, 16, v4
	global_store_dword v[1:2], v3, off
	global_load_dword v3, v41, s[8:9] offset:1120
	s_waitcnt vmcnt(0)
	v_mul_f16_sdwa v6, v5, v3 dst_sel:DWORD dst_unused:UNUSED_PAD src0_sel:DWORD src1_sel:WORD_1
	v_mul_f16_sdwa v7, v4, v3 dst_sel:DWORD dst_unused:UNUSED_PAD src0_sel:DWORD src1_sel:WORD_1
	v_fmac_f16_e32 v6, v4, v3
	v_fma_f16 v3, v3, v5, -v7
	v_cvt_f32_f16_e32 v4, v6
	v_cvt_f32_f16_e32 v5, v3
	v_cvt_f64_f32_e32 v[3:4], v4
	v_cvt_f64_f32_e32 v[5:6], v5
	v_mul_f64 v[3:4], v[3:4], s[12:13]
	v_mul_f64 v[5:6], v[5:6], s[12:13]
	v_and_or_b32 v3, 0x1ff, v4, v3
	v_and_or_b32 v5, 0x1ff, v6, v5
	v_lshrrev_b32_e32 v7, 8, v4
	v_bfe_u32 v8, v4, 20, 11
	v_lshrrev_b32_e32 v9, 8, v6
	v_cmp_ne_u32_e32 vcc_lo, 0, v3
	v_bfe_u32 v10, v6, 20, 11
	v_lshrrev_b32_e32 v4, 16, v4
	v_sub_nc_u32_e32 v11, 0x3f1, v8
	v_add_nc_u32_e32 v8, 0xfffffc10, v8
	v_cndmask_b32_e64 v3, 0, 1, vcc_lo
	v_cmp_ne_u32_e32 vcc_lo, 0, v5
	v_lshrrev_b32_e32 v6, 16, v6
	v_and_or_b32 v3, 0xffe, v7, v3
	v_cndmask_b32_e64 v5, 0, 1, vcc_lo
	v_sub_nc_u32_e32 v7, 0x3f1, v10
	v_add_nc_u32_e32 v10, 0xfffffc10, v10
	v_and_or_b32 v5, 0xffe, v9, v5
	v_med3_i32 v9, v11, 0, 13
	v_or_b32_e32 v11, 0x1000, v3
	v_med3_i32 v7, v7, 0, 13
	v_or_b32_e32 v12, 0x1000, v5
	v_lshrrev_b32_e32 v13, v9, v11
	v_lshrrev_b32_e32 v14, v7, v12
	v_lshlrev_b32_e32 v9, v9, v13
	v_lshlrev_b32_e32 v7, v7, v14
	v_cmp_ne_u32_e32 vcc_lo, v9, v11
	v_lshl_or_b32 v11, v8, 12, v3
	v_cndmask_b32_e64 v9, 0, 1, vcc_lo
	v_cmp_ne_u32_e32 vcc_lo, v7, v12
	v_lshl_or_b32 v12, v10, 12, v5
	v_or_b32_e32 v9, v13, v9
	v_cndmask_b32_e64 v7, 0, 1, vcc_lo
	v_cmp_gt_i32_e32 vcc_lo, 1, v8
	v_or_b32_e32 v7, v14, v7
	v_cndmask_b32_e32 v9, v11, v9, vcc_lo
	v_cmp_gt_i32_e32 vcc_lo, 1, v10
	v_and_b32_e32 v11, 7, v9
	v_cndmask_b32_e32 v7, v12, v7, vcc_lo
	v_cmp_ne_u32_e32 vcc_lo, 0, v3
	v_lshrrev_b32_e32 v9, 2, v9
	v_cmp_eq_u32_e64 s0, 3, v11
	v_and_b32_e32 v12, 7, v7
	v_cndmask_b32_e64 v3, 0, 1, vcc_lo
	v_cmp_ne_u32_e32 vcc_lo, 0, v5
	v_lshrrev_b32_e32 v7, 2, v7
	v_cmp_lt_i32_e64 s1, 5, v12
	v_cmp_eq_u32_e64 s2, 3, v12
	v_cndmask_b32_e64 v5, 0, 1, vcc_lo
	v_cmp_lt_i32_e32 vcc_lo, 5, v11
	v_lshl_or_b32 v3, v3, 9, 0x7c00
	v_lshl_or_b32 v5, v5, 9, 0x7c00
	s_or_b32 vcc_lo, s0, vcc_lo
	v_add_co_ci_u32_e32 v9, vcc_lo, 0, v9, vcc_lo
	s_or_b32 vcc_lo, s2, s1
	v_add_co_ci_u32_e32 v7, vcc_lo, 0, v7, vcc_lo
	v_cmp_gt_i32_e32 vcc_lo, 31, v8
	v_cndmask_b32_e32 v9, 0x7c00, v9, vcc_lo
	v_cmp_gt_i32_e32 vcc_lo, 31, v10
	v_cndmask_b32_e32 v7, 0x7c00, v7, vcc_lo
	v_cmp_eq_u32_e32 vcc_lo, 0x40f, v8
	v_cndmask_b32_e32 v3, v9, v3, vcc_lo
	v_cmp_eq_u32_e32 vcc_lo, 0x40f, v10
	v_and_or_b32 v3, 0x8000, v4, v3
	v_cndmask_b32_e32 v5, v7, v5, vcc_lo
	v_add_co_u32 v1, vcc_lo, v1, s4
	v_add_co_ci_u32_e32 v2, vcc_lo, s3, v2, vcc_lo
	v_and_or_b32 v4, 0x8000, v6, v5
	v_and_b32_e32 v3, 0xffff, v3
	v_lshl_or_b32 v3, v4, 16, v3
	global_store_dword v[1:2], v3, off
	global_load_dword v5, v41, s[8:9] offset:1400
	ds_read2_b32 v[3:4], v0 offset0:94 offset1:164
	s_waitcnt lgkmcnt(0)
	v_lshrrev_b32_e32 v0, 16, v3
	s_waitcnt vmcnt(0)
	v_mul_f16_sdwa v6, v0, v5 dst_sel:DWORD dst_unused:UNUSED_PAD src0_sel:DWORD src1_sel:WORD_1
	v_mul_f16_sdwa v7, v3, v5 dst_sel:DWORD dst_unused:UNUSED_PAD src0_sel:DWORD src1_sel:WORD_1
	v_fmac_f16_e32 v6, v3, v5
	v_fma_f16 v0, v5, v0, -v7
	v_cvt_f32_f16_e32 v3, v6
	v_cvt_f32_f16_e32 v0, v0
	v_cvt_f64_f32_e32 v[5:6], v3
	v_cvt_f64_f32_e32 v[7:8], v0
	v_mul_f64 v[5:6], v[5:6], s[12:13]
	v_mul_f64 v[7:8], v[7:8], s[12:13]
	v_and_or_b32 v0, 0x1ff, v6, v5
	v_and_or_b32 v7, 0x1ff, v8, v7
	v_lshrrev_b32_e32 v3, 8, v6
	v_bfe_u32 v5, v6, 20, 11
	v_lshrrev_b32_e32 v9, 8, v8
	v_cmp_ne_u32_e32 vcc_lo, 0, v0
	v_bfe_u32 v10, v8, 20, 11
	v_lshrrev_b32_e32 v6, 16, v6
	v_sub_nc_u32_e32 v11, 0x3f1, v5
	v_add_nc_u32_e32 v5, 0xfffffc10, v5
	v_cndmask_b32_e64 v0, 0, 1, vcc_lo
	v_cmp_ne_u32_e32 vcc_lo, 0, v7
	v_and_or_b32 v0, 0xffe, v3, v0
	v_cndmask_b32_e64 v7, 0, 1, vcc_lo
	v_sub_nc_u32_e32 v3, 0x3f1, v10
	v_add_nc_u32_e32 v10, 0xfffffc10, v10
	v_and_or_b32 v7, 0xffe, v9, v7
	v_med3_i32 v9, v11, 0, 13
	v_or_b32_e32 v11, 0x1000, v0
	v_med3_i32 v3, v3, 0, 13
	v_or_b32_e32 v12, 0x1000, v7
	v_lshrrev_b32_e32 v13, v9, v11
	v_lshrrev_b32_e32 v14, v3, v12
	v_lshlrev_b32_e32 v9, v9, v13
	v_lshlrev_b32_e32 v3, v3, v14
	v_cmp_ne_u32_e32 vcc_lo, v9, v11
	v_lshl_or_b32 v11, v5, 12, v0
	v_cndmask_b32_e64 v9, 0, 1, vcc_lo
	v_cmp_ne_u32_e32 vcc_lo, v3, v12
	v_lshl_or_b32 v12, v10, 12, v7
	v_or_b32_e32 v9, v13, v9
	v_cndmask_b32_e64 v3, 0, 1, vcc_lo
	v_cmp_gt_i32_e32 vcc_lo, 1, v5
	v_or_b32_e32 v3, v14, v3
	v_cndmask_b32_e32 v9, v11, v9, vcc_lo
	v_cmp_gt_i32_e32 vcc_lo, 1, v10
	v_and_b32_e32 v11, 7, v9
	v_cndmask_b32_e32 v3, v12, v3, vcc_lo
	v_cmp_ne_u32_e32 vcc_lo, 0, v0
	v_lshrrev_b32_e32 v9, 2, v9
	v_cmp_eq_u32_e64 s0, 3, v11
	v_and_b32_e32 v12, 7, v3
	v_cndmask_b32_e64 v0, 0, 1, vcc_lo
	v_cmp_ne_u32_e32 vcc_lo, 0, v7
	v_lshrrev_b32_e32 v3, 2, v3
	v_cmp_lt_i32_e64 s1, 5, v12
	v_cmp_eq_u32_e64 s2, 3, v12
	v_cndmask_b32_e64 v7, 0, 1, vcc_lo
	v_cmp_lt_i32_e32 vcc_lo, 5, v11
	v_lshl_or_b32 v0, v0, 9, 0x7c00
	v_lshl_or_b32 v7, v7, 9, 0x7c00
	s_or_b32 vcc_lo, s0, vcc_lo
	v_add_co_ci_u32_e32 v9, vcc_lo, 0, v9, vcc_lo
	s_or_b32 vcc_lo, s2, s1
	v_add_co_ci_u32_e32 v3, vcc_lo, 0, v3, vcc_lo
	v_cmp_gt_i32_e32 vcc_lo, 31, v5
	v_cndmask_b32_e32 v9, 0x7c00, v9, vcc_lo
	v_cmp_gt_i32_e32 vcc_lo, 31, v10
	v_cndmask_b32_e32 v3, 0x7c00, v3, vcc_lo
	v_cmp_eq_u32_e32 vcc_lo, 0x40f, v5
	v_lshrrev_b32_e32 v5, 16, v8
	v_cndmask_b32_e32 v0, v9, v0, vcc_lo
	v_cmp_eq_u32_e32 vcc_lo, 0x40f, v10
	v_and_or_b32 v0, 0x8000, v6, v0
	v_cndmask_b32_e32 v3, v3, v7, vcc_lo
	v_and_or_b32 v3, 0x8000, v5, v3
	v_and_b32_e32 v5, 0xffff, v0
	v_add_co_u32 v0, vcc_lo, v1, s4
	v_add_co_ci_u32_e32 v1, vcc_lo, s3, v2, vcc_lo
	v_lshl_or_b32 v2, v3, 16, v5
	v_lshrrev_b32_e32 v3, 16, v4
	global_store_dword v[0:1], v2, off
	global_load_dword v2, v41, s[8:9] offset:1680
	s_waitcnt vmcnt(0)
	v_mul_f16_sdwa v5, v3, v2 dst_sel:DWORD dst_unused:UNUSED_PAD src0_sel:DWORD src1_sel:WORD_1
	v_mul_f16_sdwa v6, v4, v2 dst_sel:DWORD dst_unused:UNUSED_PAD src0_sel:DWORD src1_sel:WORD_1
	v_fmac_f16_e32 v5, v4, v2
	v_fma_f16 v2, v2, v3, -v6
	v_cvt_f32_f16_e32 v3, v5
	v_cvt_f32_f16_e32 v4, v2
	v_cvt_f64_f32_e32 v[2:3], v3
	v_cvt_f64_f32_e32 v[4:5], v4
	v_mul_f64 v[2:3], v[2:3], s[12:13]
	v_mul_f64 v[4:5], v[4:5], s[12:13]
	v_and_or_b32 v2, 0x1ff, v3, v2
	v_and_or_b32 v4, 0x1ff, v5, v4
	v_lshrrev_b32_e32 v6, 8, v3
	v_bfe_u32 v7, v3, 20, 11
	v_lshrrev_b32_e32 v8, 8, v5
	v_cmp_ne_u32_e32 vcc_lo, 0, v2
	v_bfe_u32 v9, v5, 20, 11
	v_lshrrev_b32_e32 v3, 16, v3
	v_sub_nc_u32_e32 v10, 0x3f1, v7
	v_add_nc_u32_e32 v7, 0xfffffc10, v7
	v_cndmask_b32_e64 v2, 0, 1, vcc_lo
	v_cmp_ne_u32_e32 vcc_lo, 0, v4
	v_lshrrev_b32_e32 v5, 16, v5
	v_and_or_b32 v2, 0xffe, v6, v2
	v_cndmask_b32_e64 v4, 0, 1, vcc_lo
	v_sub_nc_u32_e32 v6, 0x3f1, v9
	v_add_nc_u32_e32 v9, 0xfffffc10, v9
	v_and_or_b32 v4, 0xffe, v8, v4
	v_med3_i32 v8, v10, 0, 13
	v_or_b32_e32 v10, 0x1000, v2
	v_med3_i32 v6, v6, 0, 13
	v_or_b32_e32 v11, 0x1000, v4
	v_lshrrev_b32_e32 v12, v8, v10
	v_lshrrev_b32_e32 v13, v6, v11
	v_lshlrev_b32_e32 v8, v8, v12
	v_lshlrev_b32_e32 v6, v6, v13
	v_cmp_ne_u32_e32 vcc_lo, v8, v10
	v_lshl_or_b32 v10, v7, 12, v2
	v_cndmask_b32_e64 v8, 0, 1, vcc_lo
	v_cmp_ne_u32_e32 vcc_lo, v6, v11
	v_lshl_or_b32 v11, v9, 12, v4
	v_or_b32_e32 v8, v12, v8
	v_cndmask_b32_e64 v6, 0, 1, vcc_lo
	v_cmp_gt_i32_e32 vcc_lo, 1, v7
	v_or_b32_e32 v6, v13, v6
	v_cndmask_b32_e32 v8, v10, v8, vcc_lo
	v_cmp_gt_i32_e32 vcc_lo, 1, v9
	v_and_b32_e32 v10, 7, v8
	v_cndmask_b32_e32 v6, v11, v6, vcc_lo
	v_cmp_ne_u32_e32 vcc_lo, 0, v2
	v_lshrrev_b32_e32 v8, 2, v8
	v_cmp_eq_u32_e64 s0, 3, v10
	v_and_b32_e32 v11, 7, v6
	v_cndmask_b32_e64 v2, 0, 1, vcc_lo
	v_cmp_ne_u32_e32 vcc_lo, 0, v4
	v_lshrrev_b32_e32 v6, 2, v6
	v_cmp_lt_i32_e64 s1, 5, v11
	v_cmp_eq_u32_e64 s2, 3, v11
	v_cndmask_b32_e64 v4, 0, 1, vcc_lo
	v_cmp_lt_i32_e32 vcc_lo, 5, v10
	v_lshl_or_b32 v2, v2, 9, 0x7c00
	v_lshl_or_b32 v4, v4, 9, 0x7c00
	s_or_b32 vcc_lo, s0, vcc_lo
	v_add_co_ci_u32_e32 v8, vcc_lo, 0, v8, vcc_lo
	s_or_b32 vcc_lo, s2, s1
	v_add_co_ci_u32_e32 v6, vcc_lo, 0, v6, vcc_lo
	v_cmp_gt_i32_e32 vcc_lo, 31, v7
	v_cndmask_b32_e32 v8, 0x7c00, v8, vcc_lo
	v_cmp_gt_i32_e32 vcc_lo, 31, v9
	v_cndmask_b32_e32 v6, 0x7c00, v6, vcc_lo
	v_cmp_eq_u32_e32 vcc_lo, 0x40f, v7
	v_cndmask_b32_e32 v2, v8, v2, vcc_lo
	v_cmp_eq_u32_e32 vcc_lo, 0x40f, v9
	v_and_or_b32 v2, 0x8000, v3, v2
	v_cndmask_b32_e32 v4, v6, v4, vcc_lo
	v_add_co_u32 v0, vcc_lo, v0, s4
	v_add_co_ci_u32_e32 v1, vcc_lo, s3, v1, vcc_lo
	v_and_or_b32 v3, 0x8000, v5, v4
	v_and_b32_e32 v2, 0xffff, v2
	v_lshl_or_b32 v2, v3, 16, v2
	v_add_nc_u32_e32 v3, 0x600, v44
	global_store_dword v[0:1], v2, off
	global_load_dword v2, v41, s[8:9] offset:1960
	ds_read2_b32 v[3:4], v3 offset0:106 offset1:176
	s_waitcnt lgkmcnt(0)
	v_lshrrev_b32_e32 v5, 16, v3
	s_waitcnt vmcnt(0)
	v_mul_f16_sdwa v6, v5, v2 dst_sel:DWORD dst_unused:UNUSED_PAD src0_sel:DWORD src1_sel:WORD_1
	v_mul_f16_sdwa v7, v3, v2 dst_sel:DWORD dst_unused:UNUSED_PAD src0_sel:DWORD src1_sel:WORD_1
	v_fmac_f16_e32 v6, v3, v2
	v_fma_f16 v2, v2, v5, -v7
	v_cvt_f32_f16_e32 v3, v6
	v_cvt_f32_f16_e32 v5, v2
	v_cvt_f64_f32_e32 v[2:3], v3
	v_cvt_f64_f32_e32 v[5:6], v5
	v_mul_f64 v[2:3], v[2:3], s[12:13]
	v_mul_f64 v[5:6], v[5:6], s[12:13]
	v_and_or_b32 v2, 0x1ff, v3, v2
	v_and_or_b32 v5, 0x1ff, v6, v5
	v_lshrrev_b32_e32 v7, 8, v3
	v_bfe_u32 v8, v3, 20, 11
	v_lshrrev_b32_e32 v9, 8, v6
	v_cmp_ne_u32_e32 vcc_lo, 0, v2
	v_bfe_u32 v10, v6, 20, 11
	v_lshrrev_b32_e32 v3, 16, v3
	v_sub_nc_u32_e32 v11, 0x3f1, v8
	v_add_nc_u32_e32 v8, 0xfffffc10, v8
	v_cndmask_b32_e64 v2, 0, 1, vcc_lo
	v_cmp_ne_u32_e32 vcc_lo, 0, v5
	v_lshrrev_b32_e32 v6, 16, v6
	v_and_or_b32 v2, 0xffe, v7, v2
	v_cndmask_b32_e64 v5, 0, 1, vcc_lo
	v_sub_nc_u32_e32 v7, 0x3f1, v10
	v_add_nc_u32_e32 v10, 0xfffffc10, v10
	v_and_or_b32 v5, 0xffe, v9, v5
	v_med3_i32 v9, v11, 0, 13
	v_or_b32_e32 v11, 0x1000, v2
	v_med3_i32 v7, v7, 0, 13
	v_or_b32_e32 v12, 0x1000, v5
	v_lshrrev_b32_e32 v13, v9, v11
	v_lshrrev_b32_e32 v14, v7, v12
	v_lshlrev_b32_e32 v9, v9, v13
	v_lshlrev_b32_e32 v7, v7, v14
	v_cmp_ne_u32_e32 vcc_lo, v9, v11
	v_lshl_or_b32 v11, v8, 12, v2
	v_cndmask_b32_e64 v9, 0, 1, vcc_lo
	v_cmp_ne_u32_e32 vcc_lo, v7, v12
	v_lshl_or_b32 v12, v10, 12, v5
	v_or_b32_e32 v9, v13, v9
	v_cndmask_b32_e64 v7, 0, 1, vcc_lo
	v_cmp_gt_i32_e32 vcc_lo, 1, v8
	v_or_b32_e32 v7, v14, v7
	v_cndmask_b32_e32 v9, v11, v9, vcc_lo
	v_cmp_gt_i32_e32 vcc_lo, 1, v10
	v_and_b32_e32 v11, 7, v9
	v_cndmask_b32_e32 v7, v12, v7, vcc_lo
	v_cmp_ne_u32_e32 vcc_lo, 0, v2
	v_lshrrev_b32_e32 v9, 2, v9
	v_cmp_eq_u32_e64 s0, 3, v11
	v_and_b32_e32 v12, 7, v7
	v_cndmask_b32_e64 v2, 0, 1, vcc_lo
	v_cmp_ne_u32_e32 vcc_lo, 0, v5
	v_lshrrev_b32_e32 v7, 2, v7
	v_cmp_lt_i32_e64 s1, 5, v12
	v_cmp_eq_u32_e64 s2, 3, v12
	v_cndmask_b32_e64 v5, 0, 1, vcc_lo
	v_cmp_lt_i32_e32 vcc_lo, 5, v11
	v_lshl_or_b32 v2, v2, 9, 0x7c00
	v_lshl_or_b32 v5, v5, 9, 0x7c00
	s_or_b32 vcc_lo, s0, vcc_lo
	v_add_co_ci_u32_e32 v9, vcc_lo, 0, v9, vcc_lo
	s_or_b32 vcc_lo, s2, s1
	v_add_co_ci_u32_e32 v7, vcc_lo, 0, v7, vcc_lo
	v_cmp_gt_i32_e32 vcc_lo, 31, v8
	v_cndmask_b32_e32 v9, 0x7c00, v9, vcc_lo
	v_cmp_gt_i32_e32 vcc_lo, 31, v10
	v_cndmask_b32_e32 v7, 0x7c00, v7, vcc_lo
	v_cmp_eq_u32_e32 vcc_lo, 0x40f, v8
	v_cndmask_b32_e32 v2, v9, v2, vcc_lo
	v_cmp_eq_u32_e32 vcc_lo, 0x40f, v10
	v_cndmask_b32_e32 v5, v7, v5, vcc_lo
	v_and_or_b32 v7, 0x8000, v3, v2
	v_add_co_u32 v2, s0, s8, v41
	v_add_co_ci_u32_e64 v3, null, s9, 0, s0
	v_and_or_b32 v8, 0x8000, v6, v5
	v_and_b32_e32 v7, 0xffff, v7
	v_add_co_u32 v5, vcc_lo, v0, s4
	v_add_co_ci_u32_e32 v6, vcc_lo, s3, v1, vcc_lo
	v_add_co_u32 v0, vcc_lo, 0x800, v2
	v_lshl_or_b32 v7, v8, 16, v7
	v_add_co_ci_u32_e32 v1, vcc_lo, 0, v3, vcc_lo
	v_lshrrev_b32_e32 v8, 16, v4
	global_store_dword v[5:6], v7, off
	global_load_dword v7, v[0:1], off offset:192
	s_waitcnt vmcnt(0)
	v_mul_f16_sdwa v9, v8, v7 dst_sel:DWORD dst_unused:UNUSED_PAD src0_sel:DWORD src1_sel:WORD_1
	v_mul_f16_sdwa v10, v4, v7 dst_sel:DWORD dst_unused:UNUSED_PAD src0_sel:DWORD src1_sel:WORD_1
	v_fmac_f16_e32 v9, v4, v7
	v_fma_f16 v4, v7, v8, -v10
	v_cvt_f32_f16_e32 v7, v9
	v_cvt_f32_f16_e32 v4, v4
	v_cvt_f64_f32_e32 v[7:8], v7
	v_cvt_f64_f32_e32 v[9:10], v4
	v_mul_f64 v[7:8], v[7:8], s[12:13]
	v_mul_f64 v[9:10], v[9:10], s[12:13]
	v_and_or_b32 v4, 0x1ff, v8, v7
	v_and_or_b32 v9, 0x1ff, v10, v9
	v_lshrrev_b32_e32 v7, 8, v8
	v_bfe_u32 v11, v8, 20, 11
	v_lshrrev_b32_e32 v12, 8, v10
	v_cmp_ne_u32_e32 vcc_lo, 0, v4
	v_bfe_u32 v13, v10, 20, 11
	v_lshrrev_b32_e32 v8, 16, v8
	v_sub_nc_u32_e32 v14, 0x3f1, v11
	v_add_nc_u32_e32 v11, 0xfffffc10, v11
	v_cndmask_b32_e64 v4, 0, 1, vcc_lo
	v_cmp_ne_u32_e32 vcc_lo, 0, v9
	v_lshrrev_b32_e32 v10, 16, v10
	v_and_or_b32 v4, 0xffe, v7, v4
	v_cndmask_b32_e64 v9, 0, 1, vcc_lo
	v_sub_nc_u32_e32 v7, 0x3f1, v13
	v_add_nc_u32_e32 v13, 0xfffffc10, v13
	v_and_or_b32 v9, 0xffe, v12, v9
	v_med3_i32 v12, v14, 0, 13
	v_or_b32_e32 v14, 0x1000, v4
	v_med3_i32 v7, v7, 0, 13
	v_or_b32_e32 v15, 0x1000, v9
	v_lshrrev_b32_e32 v16, v12, v14
	v_lshrrev_b32_e32 v17, v7, v15
	v_lshlrev_b32_e32 v12, v12, v16
	v_lshlrev_b32_e32 v7, v7, v17
	v_cmp_ne_u32_e32 vcc_lo, v12, v14
	v_lshl_or_b32 v14, v11, 12, v4
	v_cndmask_b32_e64 v12, 0, 1, vcc_lo
	v_cmp_ne_u32_e32 vcc_lo, v7, v15
	v_lshl_or_b32 v15, v13, 12, v9
	v_or_b32_e32 v12, v16, v12
	v_cndmask_b32_e64 v7, 0, 1, vcc_lo
	v_cmp_gt_i32_e32 vcc_lo, 1, v11
	v_or_b32_e32 v7, v17, v7
	v_cndmask_b32_e32 v12, v14, v12, vcc_lo
	v_cmp_gt_i32_e32 vcc_lo, 1, v13
	v_and_b32_e32 v14, 7, v12
	v_cndmask_b32_e32 v7, v15, v7, vcc_lo
	v_cmp_ne_u32_e32 vcc_lo, 0, v4
	v_lshrrev_b32_e32 v12, 2, v12
	v_cmp_eq_u32_e64 s0, 3, v14
	v_and_b32_e32 v15, 7, v7
	v_cndmask_b32_e64 v4, 0, 1, vcc_lo
	v_cmp_ne_u32_e32 vcc_lo, 0, v9
	v_lshrrev_b32_e32 v7, 2, v7
	v_cmp_lt_i32_e64 s1, 5, v15
	v_cmp_eq_u32_e64 s2, 3, v15
	v_cndmask_b32_e64 v9, 0, 1, vcc_lo
	v_cmp_lt_i32_e32 vcc_lo, 5, v14
	v_lshl_or_b32 v4, v4, 9, 0x7c00
	v_lshl_or_b32 v9, v9, 9, 0x7c00
	s_or_b32 vcc_lo, s0, vcc_lo
	v_add_co_ci_u32_e32 v12, vcc_lo, 0, v12, vcc_lo
	s_or_b32 vcc_lo, s2, s1
	v_add_co_ci_u32_e32 v7, vcc_lo, 0, v7, vcc_lo
	v_cmp_gt_i32_e32 vcc_lo, 31, v11
	v_cndmask_b32_e32 v12, 0x7c00, v12, vcc_lo
	v_cmp_gt_i32_e32 vcc_lo, 31, v13
	v_cndmask_b32_e32 v7, 0x7c00, v7, vcc_lo
	v_cmp_eq_u32_e32 vcc_lo, 0x40f, v11
	v_cndmask_b32_e32 v4, v12, v4, vcc_lo
	v_cmp_eq_u32_e32 vcc_lo, 0x40f, v13
	v_and_or_b32 v4, 0x8000, v8, v4
	v_cndmask_b32_e32 v7, v7, v9, vcc_lo
	v_and_b32_e32 v8, 0xffff, v4
	v_and_or_b32 v7, 0x8000, v10, v7
	v_add_co_u32 v4, vcc_lo, v5, s4
	v_add_co_ci_u32_e32 v5, vcc_lo, s3, v6, vcc_lo
	v_lshl_or_b32 v6, v7, 16, v8
	global_store_dword v[4:5], v6, off
	global_load_dword v8, v[0:1], off offset:472
	v_add_nc_u32_e32 v6, 0x800, v44
	ds_read2_b32 v[6:7], v6 offset0:118 offset1:188
	s_waitcnt lgkmcnt(0)
	v_lshrrev_b32_e32 v9, 16, v6
	s_waitcnt vmcnt(0)
	v_mul_f16_sdwa v10, v9, v8 dst_sel:DWORD dst_unused:UNUSED_PAD src0_sel:DWORD src1_sel:WORD_1
	v_mul_f16_sdwa v11, v6, v8 dst_sel:DWORD dst_unused:UNUSED_PAD src0_sel:DWORD src1_sel:WORD_1
	v_fmac_f16_e32 v10, v6, v8
	v_fma_f16 v6, v8, v9, -v11
	v_cvt_f32_f16_e32 v8, v10
	v_cvt_f32_f16_e32 v6, v6
	v_cvt_f64_f32_e32 v[8:9], v8
	v_cvt_f64_f32_e32 v[10:11], v6
	v_mul_f64 v[8:9], v[8:9], s[12:13]
	v_mul_f64 v[10:11], v[10:11], s[12:13]
	v_and_or_b32 v6, 0x1ff, v9, v8
	v_and_or_b32 v10, 0x1ff, v11, v10
	v_lshrrev_b32_e32 v8, 8, v9
	v_bfe_u32 v12, v9, 20, 11
	v_lshrrev_b32_e32 v13, 8, v11
	v_cmp_ne_u32_e32 vcc_lo, 0, v6
	v_bfe_u32 v14, v11, 20, 11
	v_lshrrev_b32_e32 v9, 16, v9
	v_sub_nc_u32_e32 v15, 0x3f1, v12
	v_add_nc_u32_e32 v12, 0xfffffc10, v12
	v_cndmask_b32_e64 v6, 0, 1, vcc_lo
	v_cmp_ne_u32_e32 vcc_lo, 0, v10
	v_lshrrev_b32_e32 v11, 16, v11
	v_and_or_b32 v6, 0xffe, v8, v6
	v_cndmask_b32_e64 v10, 0, 1, vcc_lo
	v_sub_nc_u32_e32 v8, 0x3f1, v14
	v_add_nc_u32_e32 v14, 0xfffffc10, v14
	v_and_or_b32 v10, 0xffe, v13, v10
	v_med3_i32 v13, v15, 0, 13
	v_or_b32_e32 v15, 0x1000, v6
	v_med3_i32 v8, v8, 0, 13
	v_or_b32_e32 v16, 0x1000, v10
	v_lshrrev_b32_e32 v17, v13, v15
	v_lshrrev_b32_e32 v18, v8, v16
	v_lshlrev_b32_e32 v13, v13, v17
	v_lshlrev_b32_e32 v8, v8, v18
	v_cmp_ne_u32_e32 vcc_lo, v13, v15
	v_lshl_or_b32 v15, v12, 12, v6
	v_cndmask_b32_e64 v13, 0, 1, vcc_lo
	v_cmp_ne_u32_e32 vcc_lo, v8, v16
	v_lshl_or_b32 v16, v14, 12, v10
	v_or_b32_e32 v13, v17, v13
	v_cndmask_b32_e64 v8, 0, 1, vcc_lo
	v_cmp_gt_i32_e32 vcc_lo, 1, v12
	v_or_b32_e32 v8, v18, v8
	v_cndmask_b32_e32 v13, v15, v13, vcc_lo
	v_cmp_gt_i32_e32 vcc_lo, 1, v14
	v_and_b32_e32 v15, 7, v13
	v_cndmask_b32_e32 v8, v16, v8, vcc_lo
	v_cmp_ne_u32_e32 vcc_lo, 0, v6
	v_lshrrev_b32_e32 v13, 2, v13
	v_cmp_eq_u32_e64 s0, 3, v15
	v_and_b32_e32 v16, 7, v8
	v_cndmask_b32_e64 v6, 0, 1, vcc_lo
	v_cmp_ne_u32_e32 vcc_lo, 0, v10
	v_lshrrev_b32_e32 v8, 2, v8
	v_cmp_lt_i32_e64 s1, 5, v16
	v_cmp_eq_u32_e64 s2, 3, v16
	v_cndmask_b32_e64 v10, 0, 1, vcc_lo
	v_cmp_lt_i32_e32 vcc_lo, 5, v15
	v_lshl_or_b32 v6, v6, 9, 0x7c00
	v_lshl_or_b32 v10, v10, 9, 0x7c00
	s_or_b32 vcc_lo, s0, vcc_lo
	v_add_co_ci_u32_e32 v13, vcc_lo, 0, v13, vcc_lo
	s_or_b32 vcc_lo, s2, s1
	v_add_co_ci_u32_e32 v8, vcc_lo, 0, v8, vcc_lo
	v_cmp_gt_i32_e32 vcc_lo, 31, v12
	v_cndmask_b32_e32 v13, 0x7c00, v13, vcc_lo
	v_cmp_gt_i32_e32 vcc_lo, 31, v14
	v_cndmask_b32_e32 v8, 0x7c00, v8, vcc_lo
	v_cmp_eq_u32_e32 vcc_lo, 0x40f, v12
	v_cndmask_b32_e32 v6, v13, v6, vcc_lo
	v_cmp_eq_u32_e32 vcc_lo, 0x40f, v14
	v_and_or_b32 v6, 0x8000, v9, v6
	v_cndmask_b32_e32 v8, v8, v10, vcc_lo
	v_add_co_u32 v4, vcc_lo, v4, s4
	v_add_co_ci_u32_e32 v5, vcc_lo, s3, v5, vcc_lo
	v_and_or_b32 v8, 0x8000, v11, v8
	v_and_b32_e32 v6, 0xffff, v6
	v_lshl_or_b32 v6, v8, 16, v6
	v_lshrrev_b32_e32 v8, 16, v7
	global_store_dword v[4:5], v6, off
	global_load_dword v6, v[0:1], off offset:752
	s_waitcnt vmcnt(0)
	v_mul_f16_sdwa v9, v8, v6 dst_sel:DWORD dst_unused:UNUSED_PAD src0_sel:DWORD src1_sel:WORD_1
	v_mul_f16_sdwa v10, v7, v6 dst_sel:DWORD dst_unused:UNUSED_PAD src0_sel:DWORD src1_sel:WORD_1
	v_fmac_f16_e32 v9, v7, v6
	v_fma_f16 v6, v6, v8, -v10
	v_cvt_f32_f16_e32 v7, v9
	v_cvt_f32_f16_e32 v8, v6
	v_cvt_f64_f32_e32 v[6:7], v7
	v_cvt_f64_f32_e32 v[8:9], v8
	v_mul_f64 v[6:7], v[6:7], s[12:13]
	v_mul_f64 v[8:9], v[8:9], s[12:13]
	v_and_or_b32 v6, 0x1ff, v7, v6
	v_and_or_b32 v8, 0x1ff, v9, v8
	v_lshrrev_b32_e32 v10, 8, v7
	v_bfe_u32 v11, v7, 20, 11
	v_lshrrev_b32_e32 v12, 8, v9
	v_cmp_ne_u32_e32 vcc_lo, 0, v6
	v_bfe_u32 v13, v9, 20, 11
	v_lshrrev_b32_e32 v7, 16, v7
	v_sub_nc_u32_e32 v14, 0x3f1, v11
	v_add_nc_u32_e32 v11, 0xfffffc10, v11
	v_cndmask_b32_e64 v6, 0, 1, vcc_lo
	v_cmp_ne_u32_e32 vcc_lo, 0, v8
	v_lshrrev_b32_e32 v9, 16, v9
	v_and_or_b32 v6, 0xffe, v10, v6
	v_cndmask_b32_e64 v8, 0, 1, vcc_lo
	v_sub_nc_u32_e32 v10, 0x3f1, v13
	v_add_nc_u32_e32 v13, 0xfffffc10, v13
	v_and_or_b32 v8, 0xffe, v12, v8
	v_med3_i32 v12, v14, 0, 13
	v_or_b32_e32 v14, 0x1000, v6
	v_med3_i32 v10, v10, 0, 13
	v_or_b32_e32 v15, 0x1000, v8
	v_lshrrev_b32_e32 v16, v12, v14
	v_lshrrev_b32_e32 v17, v10, v15
	v_lshlrev_b32_e32 v12, v12, v16
	v_lshlrev_b32_e32 v10, v10, v17
	v_cmp_ne_u32_e32 vcc_lo, v12, v14
	v_lshl_or_b32 v14, v11, 12, v6
	v_cndmask_b32_e64 v12, 0, 1, vcc_lo
	v_cmp_ne_u32_e32 vcc_lo, v10, v15
	v_lshl_or_b32 v15, v13, 12, v8
	v_or_b32_e32 v12, v16, v12
	v_cndmask_b32_e64 v10, 0, 1, vcc_lo
	v_cmp_gt_i32_e32 vcc_lo, 1, v11
	v_or_b32_e32 v10, v17, v10
	v_cndmask_b32_e32 v12, v14, v12, vcc_lo
	v_cmp_gt_i32_e32 vcc_lo, 1, v13
	v_and_b32_e32 v14, 7, v12
	v_cndmask_b32_e32 v10, v15, v10, vcc_lo
	v_cmp_ne_u32_e32 vcc_lo, 0, v6
	v_lshrrev_b32_e32 v12, 2, v12
	v_cmp_eq_u32_e64 s0, 3, v14
	v_and_b32_e32 v15, 7, v10
	v_cndmask_b32_e64 v6, 0, 1, vcc_lo
	v_cmp_ne_u32_e32 vcc_lo, 0, v8
	v_lshrrev_b32_e32 v10, 2, v10
	v_cmp_lt_i32_e64 s1, 5, v15
	v_cmp_eq_u32_e64 s2, 3, v15
	v_cndmask_b32_e64 v8, 0, 1, vcc_lo
	v_cmp_lt_i32_e32 vcc_lo, 5, v14
	v_lshl_or_b32 v6, v6, 9, 0x7c00
	v_lshl_or_b32 v8, v8, 9, 0x7c00
	s_or_b32 vcc_lo, s0, vcc_lo
	v_add_co_ci_u32_e32 v12, vcc_lo, 0, v12, vcc_lo
	s_or_b32 vcc_lo, s2, s1
	v_add_co_ci_u32_e32 v10, vcc_lo, 0, v10, vcc_lo
	v_cmp_gt_i32_e32 vcc_lo, 31, v11
	v_cndmask_b32_e32 v12, 0x7c00, v12, vcc_lo
	v_cmp_gt_i32_e32 vcc_lo, 31, v13
	v_cndmask_b32_e32 v10, 0x7c00, v10, vcc_lo
	v_cmp_eq_u32_e32 vcc_lo, 0x40f, v11
	v_cndmask_b32_e32 v6, v12, v6, vcc_lo
	v_cmp_eq_u32_e32 vcc_lo, 0x40f, v13
	v_add_nc_u32_e32 v12, 0xc00, v44
	v_and_or_b32 v6, 0x8000, v7, v6
	v_cndmask_b32_e32 v8, v10, v8, vcc_lo
	v_add_co_u32 v4, vcc_lo, v4, s4
	v_add_co_ci_u32_e32 v5, vcc_lo, s3, v5, vcc_lo
	v_and_or_b32 v7, 0x8000, v9, v8
	v_and_b32_e32 v6, 0xffff, v6
	v_lshl_or_b32 v6, v7, 16, v6
	global_store_dword v[4:5], v6, off
	global_load_dword v8, v[0:1], off offset:1032
	ds_read2_b32 v[6:7], v12 offset0:2 offset1:72
	s_waitcnt lgkmcnt(0)
	v_lshrrev_b32_e32 v9, 16, v6
	s_waitcnt vmcnt(0)
	v_mul_f16_sdwa v10, v9, v8 dst_sel:DWORD dst_unused:UNUSED_PAD src0_sel:DWORD src1_sel:WORD_1
	v_mul_f16_sdwa v11, v6, v8 dst_sel:DWORD dst_unused:UNUSED_PAD src0_sel:DWORD src1_sel:WORD_1
	v_fmac_f16_e32 v10, v6, v8
	v_fma_f16 v6, v8, v9, -v11
	v_cvt_f32_f16_e32 v8, v10
	v_cvt_f32_f16_e32 v6, v6
	v_cvt_f64_f32_e32 v[8:9], v8
	v_cvt_f64_f32_e32 v[10:11], v6
	v_mul_f64 v[8:9], v[8:9], s[12:13]
	v_mul_f64 v[10:11], v[10:11], s[12:13]
	v_and_or_b32 v6, 0x1ff, v9, v8
	v_and_or_b32 v10, 0x1ff, v11, v10
	v_lshrrev_b32_e32 v8, 8, v9
	v_bfe_u32 v13, v9, 20, 11
	v_lshrrev_b32_e32 v14, 8, v11
	v_cmp_ne_u32_e32 vcc_lo, 0, v6
	v_bfe_u32 v15, v11, 20, 11
	v_lshrrev_b32_e32 v9, 16, v9
	v_sub_nc_u32_e32 v16, 0x3f1, v13
	v_add_nc_u32_e32 v13, 0xfffffc10, v13
	v_cndmask_b32_e64 v6, 0, 1, vcc_lo
	v_cmp_ne_u32_e32 vcc_lo, 0, v10
	v_lshrrev_b32_e32 v11, 16, v11
	v_and_or_b32 v6, 0xffe, v8, v6
	v_cndmask_b32_e64 v10, 0, 1, vcc_lo
	v_sub_nc_u32_e32 v8, 0x3f1, v15
	v_add_nc_u32_e32 v15, 0xfffffc10, v15
	v_and_or_b32 v10, 0xffe, v14, v10
	v_med3_i32 v14, v16, 0, 13
	v_or_b32_e32 v16, 0x1000, v6
	v_med3_i32 v8, v8, 0, 13
	v_or_b32_e32 v17, 0x1000, v10
	v_lshrrev_b32_e32 v18, v14, v16
	v_lshrrev_b32_e32 v19, v8, v17
	v_lshlrev_b32_e32 v14, v14, v18
	v_lshlrev_b32_e32 v8, v8, v19
	v_cmp_ne_u32_e32 vcc_lo, v14, v16
	v_lshl_or_b32 v16, v13, 12, v6
	v_cndmask_b32_e64 v14, 0, 1, vcc_lo
	v_cmp_ne_u32_e32 vcc_lo, v8, v17
	v_lshl_or_b32 v17, v15, 12, v10
	v_or_b32_e32 v14, v18, v14
	v_cndmask_b32_e64 v8, 0, 1, vcc_lo
	v_cmp_gt_i32_e32 vcc_lo, 1, v13
	v_or_b32_e32 v8, v19, v8
	v_cndmask_b32_e32 v14, v16, v14, vcc_lo
	v_cmp_gt_i32_e32 vcc_lo, 1, v15
	v_and_b32_e32 v16, 7, v14
	v_cndmask_b32_e32 v8, v17, v8, vcc_lo
	v_cmp_ne_u32_e32 vcc_lo, 0, v6
	v_lshrrev_b32_e32 v14, 2, v14
	v_cmp_eq_u32_e64 s0, 3, v16
	v_and_b32_e32 v17, 7, v8
	v_cndmask_b32_e64 v6, 0, 1, vcc_lo
	v_cmp_ne_u32_e32 vcc_lo, 0, v10
	v_lshrrev_b32_e32 v8, 2, v8
	v_cmp_lt_i32_e64 s1, 5, v17
	v_cmp_eq_u32_e64 s2, 3, v17
	v_cndmask_b32_e64 v10, 0, 1, vcc_lo
	v_cmp_lt_i32_e32 vcc_lo, 5, v16
	v_lshl_or_b32 v6, v6, 9, 0x7c00
	v_lshl_or_b32 v10, v10, 9, 0x7c00
	s_or_b32 vcc_lo, s0, vcc_lo
	v_add_co_ci_u32_e32 v14, vcc_lo, 0, v14, vcc_lo
	s_or_b32 vcc_lo, s2, s1
	v_add_co_ci_u32_e32 v8, vcc_lo, 0, v8, vcc_lo
	v_cmp_gt_i32_e32 vcc_lo, 31, v13
	v_cndmask_b32_e32 v14, 0x7c00, v14, vcc_lo
	v_cmp_gt_i32_e32 vcc_lo, 31, v15
	v_cndmask_b32_e32 v8, 0x7c00, v8, vcc_lo
	v_cmp_eq_u32_e32 vcc_lo, 0x40f, v13
	v_cndmask_b32_e32 v6, v14, v6, vcc_lo
	v_cmp_eq_u32_e32 vcc_lo, 0x40f, v15
	v_and_or_b32 v6, 0x8000, v9, v6
	v_cndmask_b32_e32 v8, v8, v10, vcc_lo
	v_add_co_u32 v4, vcc_lo, v4, s4
	v_add_co_ci_u32_e32 v5, vcc_lo, s3, v5, vcc_lo
	v_and_or_b32 v8, 0x8000, v11, v8
	v_and_b32_e32 v6, 0xffff, v6
	v_lshl_or_b32 v6, v8, 16, v6
	v_lshrrev_b32_e32 v8, 16, v7
	global_store_dword v[4:5], v6, off
	global_load_dword v6, v[0:1], off offset:1312
	s_waitcnt vmcnt(0)
	v_mul_f16_sdwa v9, v8, v6 dst_sel:DWORD dst_unused:UNUSED_PAD src0_sel:DWORD src1_sel:WORD_1
	v_mul_f16_sdwa v10, v7, v6 dst_sel:DWORD dst_unused:UNUSED_PAD src0_sel:DWORD src1_sel:WORD_1
	v_fmac_f16_e32 v9, v7, v6
	v_fma_f16 v6, v6, v8, -v10
	v_cvt_f32_f16_e32 v7, v9
	v_cvt_f32_f16_e32 v8, v6
	v_cvt_f64_f32_e32 v[6:7], v7
	v_cvt_f64_f32_e32 v[8:9], v8
	v_mul_f64 v[6:7], v[6:7], s[12:13]
	v_mul_f64 v[8:9], v[8:9], s[12:13]
	v_and_or_b32 v6, 0x1ff, v7, v6
	v_and_or_b32 v8, 0x1ff, v9, v8
	v_lshrrev_b32_e32 v10, 8, v7
	v_bfe_u32 v11, v7, 20, 11
	v_lshrrev_b32_e32 v13, 8, v9
	v_cmp_ne_u32_e32 vcc_lo, 0, v6
	v_bfe_u32 v14, v9, 20, 11
	v_lshrrev_b32_e32 v7, 16, v7
	v_sub_nc_u32_e32 v15, 0x3f1, v11
	v_add_nc_u32_e32 v11, 0xfffffc10, v11
	v_cndmask_b32_e64 v6, 0, 1, vcc_lo
	v_cmp_ne_u32_e32 vcc_lo, 0, v8
	v_lshrrev_b32_e32 v9, 16, v9
	v_and_or_b32 v6, 0xffe, v10, v6
	v_cndmask_b32_e64 v8, 0, 1, vcc_lo
	v_sub_nc_u32_e32 v10, 0x3f1, v14
	v_add_nc_u32_e32 v14, 0xfffffc10, v14
	v_and_or_b32 v8, 0xffe, v13, v8
	v_med3_i32 v13, v15, 0, 13
	v_or_b32_e32 v15, 0x1000, v6
	v_med3_i32 v10, v10, 0, 13
	v_or_b32_e32 v16, 0x1000, v8
	v_lshrrev_b32_e32 v17, v13, v15
	v_lshrrev_b32_e32 v18, v10, v16
	v_lshlrev_b32_e32 v13, v13, v17
	v_lshlrev_b32_e32 v10, v10, v18
	v_cmp_ne_u32_e32 vcc_lo, v13, v15
	v_lshl_or_b32 v15, v11, 12, v6
	v_cndmask_b32_e64 v13, 0, 1, vcc_lo
	v_cmp_ne_u32_e32 vcc_lo, v10, v16
	v_lshl_or_b32 v16, v14, 12, v8
	v_or_b32_e32 v13, v17, v13
	v_cndmask_b32_e64 v10, 0, 1, vcc_lo
	v_cmp_gt_i32_e32 vcc_lo, 1, v11
	v_or_b32_e32 v10, v18, v10
	v_cndmask_b32_e32 v13, v15, v13, vcc_lo
	v_cmp_gt_i32_e32 vcc_lo, 1, v14
	v_and_b32_e32 v15, 7, v13
	v_cndmask_b32_e32 v10, v16, v10, vcc_lo
	v_cmp_ne_u32_e32 vcc_lo, 0, v6
	v_lshrrev_b32_e32 v13, 2, v13
	v_cmp_eq_u32_e64 s0, 3, v15
	v_and_b32_e32 v16, 7, v10
	v_cndmask_b32_e64 v6, 0, 1, vcc_lo
	v_cmp_ne_u32_e32 vcc_lo, 0, v8
	v_lshrrev_b32_e32 v10, 2, v10
	v_cmp_lt_i32_e64 s1, 5, v16
	v_cmp_eq_u32_e64 s2, 3, v16
	v_cndmask_b32_e64 v8, 0, 1, vcc_lo
	v_cmp_lt_i32_e32 vcc_lo, 5, v15
	v_lshl_or_b32 v6, v6, 9, 0x7c00
	v_lshl_or_b32 v8, v8, 9, 0x7c00
	s_or_b32 vcc_lo, s0, vcc_lo
	v_add_co_ci_u32_e32 v13, vcc_lo, 0, v13, vcc_lo
	s_or_b32 vcc_lo, s2, s1
	v_add_co_ci_u32_e32 v10, vcc_lo, 0, v10, vcc_lo
	v_cmp_gt_i32_e32 vcc_lo, 31, v11
	v_cndmask_b32_e32 v13, 0x7c00, v13, vcc_lo
	v_cmp_gt_i32_e32 vcc_lo, 31, v14
	v_cndmask_b32_e32 v10, 0x7c00, v10, vcc_lo
	v_cmp_eq_u32_e32 vcc_lo, 0x40f, v11
	v_cndmask_b32_e32 v6, v13, v6, vcc_lo
	v_cmp_eq_u32_e32 vcc_lo, 0x40f, v14
	v_and_or_b32 v6, 0x8000, v7, v6
	v_cndmask_b32_e32 v8, v10, v8, vcc_lo
	v_add_co_u32 v4, vcc_lo, v4, s4
	v_add_co_ci_u32_e32 v5, vcc_lo, s3, v5, vcc_lo
	v_and_or_b32 v7, 0x8000, v9, v8
	v_and_b32_e32 v6, 0xffff, v6
	v_lshl_or_b32 v6, v7, 16, v6
	global_store_dword v[4:5], v6, off
	global_load_dword v8, v[0:1], off offset:1592
	ds_read2_b32 v[6:7], v12 offset0:142 offset1:212
	s_waitcnt lgkmcnt(0)
	v_lshrrev_b32_e32 v9, 16, v6
	s_waitcnt vmcnt(0)
	v_mul_f16_sdwa v10, v9, v8 dst_sel:DWORD dst_unused:UNUSED_PAD src0_sel:DWORD src1_sel:WORD_1
	v_mul_f16_sdwa v11, v6, v8 dst_sel:DWORD dst_unused:UNUSED_PAD src0_sel:DWORD src1_sel:WORD_1
	v_fmac_f16_e32 v10, v6, v8
	v_fma_f16 v6, v8, v9, -v11
	v_cvt_f32_f16_e32 v8, v10
	v_cvt_f32_f16_e32 v6, v6
	v_cvt_f64_f32_e32 v[8:9], v8
	v_cvt_f64_f32_e32 v[10:11], v6
	v_mul_f64 v[8:9], v[8:9], s[12:13]
	v_mul_f64 v[10:11], v[10:11], s[12:13]
	v_and_or_b32 v6, 0x1ff, v9, v8
	v_and_or_b32 v10, 0x1ff, v11, v10
	v_lshrrev_b32_e32 v8, 8, v9
	v_bfe_u32 v12, v9, 20, 11
	v_lshrrev_b32_e32 v13, 8, v11
	v_cmp_ne_u32_e32 vcc_lo, 0, v6
	v_bfe_u32 v14, v11, 20, 11
	v_lshrrev_b32_e32 v9, 16, v9
	v_sub_nc_u32_e32 v15, 0x3f1, v12
	v_add_nc_u32_e32 v12, 0xfffffc10, v12
	v_cndmask_b32_e64 v6, 0, 1, vcc_lo
	v_cmp_ne_u32_e32 vcc_lo, 0, v10
	v_lshrrev_b32_e32 v11, 16, v11
	v_and_or_b32 v6, 0xffe, v8, v6
	v_cndmask_b32_e64 v10, 0, 1, vcc_lo
	v_sub_nc_u32_e32 v8, 0x3f1, v14
	v_add_nc_u32_e32 v14, 0xfffffc10, v14
	v_and_or_b32 v10, 0xffe, v13, v10
	v_med3_i32 v13, v15, 0, 13
	v_or_b32_e32 v15, 0x1000, v6
	v_med3_i32 v8, v8, 0, 13
	v_or_b32_e32 v16, 0x1000, v10
	v_lshrrev_b32_e32 v17, v13, v15
	v_lshrrev_b32_e32 v18, v8, v16
	v_lshlrev_b32_e32 v13, v13, v17
	v_lshlrev_b32_e32 v8, v8, v18
	v_cmp_ne_u32_e32 vcc_lo, v13, v15
	v_lshl_or_b32 v15, v12, 12, v6
	v_cndmask_b32_e64 v13, 0, 1, vcc_lo
	v_cmp_ne_u32_e32 vcc_lo, v8, v16
	v_lshl_or_b32 v16, v14, 12, v10
	v_or_b32_e32 v13, v17, v13
	v_cndmask_b32_e64 v8, 0, 1, vcc_lo
	v_cmp_gt_i32_e32 vcc_lo, 1, v12
	v_or_b32_e32 v8, v18, v8
	v_cndmask_b32_e32 v13, v15, v13, vcc_lo
	v_cmp_gt_i32_e32 vcc_lo, 1, v14
	v_and_b32_e32 v15, 7, v13
	v_cndmask_b32_e32 v8, v16, v8, vcc_lo
	v_cmp_ne_u32_e32 vcc_lo, 0, v6
	v_lshrrev_b32_e32 v13, 2, v13
	v_cmp_eq_u32_e64 s0, 3, v15
	v_and_b32_e32 v16, 7, v8
	v_cndmask_b32_e64 v6, 0, 1, vcc_lo
	v_cmp_ne_u32_e32 vcc_lo, 0, v10
	v_lshrrev_b32_e32 v8, 2, v8
	v_cmp_lt_i32_e64 s1, 5, v16
	v_cmp_eq_u32_e64 s2, 3, v16
	v_cndmask_b32_e64 v10, 0, 1, vcc_lo
	v_cmp_lt_i32_e32 vcc_lo, 5, v15
	v_lshl_or_b32 v6, v6, 9, 0x7c00
	v_lshl_or_b32 v10, v10, 9, 0x7c00
	s_or_b32 vcc_lo, s0, vcc_lo
	v_add_co_ci_u32_e32 v13, vcc_lo, 0, v13, vcc_lo
	s_or_b32 vcc_lo, s2, s1
	v_add_co_ci_u32_e32 v8, vcc_lo, 0, v8, vcc_lo
	v_cmp_gt_i32_e32 vcc_lo, 31, v12
	v_cndmask_b32_e32 v13, 0x7c00, v13, vcc_lo
	v_cmp_gt_i32_e32 vcc_lo, 31, v14
	v_cndmask_b32_e32 v8, 0x7c00, v8, vcc_lo
	v_cmp_eq_u32_e32 vcc_lo, 0x40f, v12
	v_cndmask_b32_e32 v6, v13, v6, vcc_lo
	v_cmp_eq_u32_e32 vcc_lo, 0x40f, v14
	v_and_or_b32 v6, 0x8000, v9, v6
	v_cndmask_b32_e32 v8, v8, v10, vcc_lo
	v_add_co_u32 v4, vcc_lo, v4, s4
	v_add_co_ci_u32_e32 v5, vcc_lo, s3, v5, vcc_lo
	v_and_or_b32 v8, 0x8000, v11, v8
	v_and_b32_e32 v6, 0xffff, v6
	v_lshl_or_b32 v6, v8, 16, v6
	global_store_dword v[4:5], v6, off
	global_load_dword v0, v[0:1], off offset:1872
	v_lshrrev_b32_e32 v1, 16, v7
	s_waitcnt vmcnt(0)
	v_mul_f16_sdwa v6, v1, v0 dst_sel:DWORD dst_unused:UNUSED_PAD src0_sel:DWORD src1_sel:WORD_1
	v_mul_f16_sdwa v8, v7, v0 dst_sel:DWORD dst_unused:UNUSED_PAD src0_sel:DWORD src1_sel:WORD_1
	v_fmac_f16_e32 v6, v7, v0
	v_fma_f16 v0, v0, v1, -v8
	v_cvt_f32_f16_e32 v1, v6
	v_cvt_f32_f16_e32 v6, v0
	v_cvt_f64_f32_e32 v[0:1], v1
	v_cvt_f64_f32_e32 v[6:7], v6
	v_mul_f64 v[0:1], v[0:1], s[12:13]
	v_mul_f64 v[6:7], v[6:7], s[12:13]
	v_and_or_b32 v0, 0x1ff, v1, v0
	v_and_or_b32 v6, 0x1ff, v7, v6
	v_lshrrev_b32_e32 v8, 8, v1
	v_bfe_u32 v9, v1, 20, 11
	v_lshrrev_b32_e32 v10, 8, v7
	v_cmp_ne_u32_e32 vcc_lo, 0, v0
	v_bfe_u32 v11, v7, 20, 11
	v_lshrrev_b32_e32 v1, 16, v1
	v_sub_nc_u32_e32 v12, 0x3f1, v9
	v_add_nc_u32_e32 v9, 0xfffffc10, v9
	v_cndmask_b32_e64 v0, 0, 1, vcc_lo
	v_cmp_ne_u32_e32 vcc_lo, 0, v6
	v_lshrrev_b32_e32 v7, 16, v7
	v_and_or_b32 v0, 0xffe, v8, v0
	v_cndmask_b32_e64 v6, 0, 1, vcc_lo
	v_sub_nc_u32_e32 v8, 0x3f1, v11
	v_add_nc_u32_e32 v11, 0xfffffc10, v11
	v_and_or_b32 v6, 0xffe, v10, v6
	v_med3_i32 v10, v12, 0, 13
	v_or_b32_e32 v12, 0x1000, v0
	v_med3_i32 v8, v8, 0, 13
	v_or_b32_e32 v13, 0x1000, v6
	v_lshrrev_b32_e32 v14, v10, v12
	v_lshrrev_b32_e32 v15, v8, v13
	v_lshlrev_b32_e32 v10, v10, v14
	v_lshlrev_b32_e32 v8, v8, v15
	v_cmp_ne_u32_e32 vcc_lo, v10, v12
	v_lshl_or_b32 v12, v9, 12, v0
	v_cndmask_b32_e64 v10, 0, 1, vcc_lo
	v_cmp_ne_u32_e32 vcc_lo, v8, v13
	v_lshl_or_b32 v13, v11, 12, v6
	v_or_b32_e32 v10, v14, v10
	v_cndmask_b32_e64 v8, 0, 1, vcc_lo
	v_cmp_gt_i32_e32 vcc_lo, 1, v9
	v_or_b32_e32 v8, v15, v8
	v_cndmask_b32_e32 v10, v12, v10, vcc_lo
	v_cmp_gt_i32_e32 vcc_lo, 1, v11
	v_and_b32_e32 v12, 7, v10
	v_cndmask_b32_e32 v8, v13, v8, vcc_lo
	v_cmp_ne_u32_e32 vcc_lo, 0, v0
	v_lshrrev_b32_e32 v10, 2, v10
	v_cmp_eq_u32_e64 s0, 3, v12
	v_and_b32_e32 v13, 7, v8
	v_cndmask_b32_e64 v0, 0, 1, vcc_lo
	v_cmp_ne_u32_e32 vcc_lo, 0, v6
	v_lshrrev_b32_e32 v8, 2, v8
	v_cmp_lt_i32_e64 s1, 5, v13
	v_cmp_eq_u32_e64 s2, 3, v13
	v_cndmask_b32_e64 v6, 0, 1, vcc_lo
	v_cmp_lt_i32_e32 vcc_lo, 5, v12
	v_lshl_or_b32 v0, v0, 9, 0x7c00
	v_lshl_or_b32 v6, v6, 9, 0x7c00
	s_or_b32 vcc_lo, s0, vcc_lo
	v_add_co_ci_u32_e32 v10, vcc_lo, 0, v10, vcc_lo
	s_or_b32 vcc_lo, s2, s1
	v_add_co_ci_u32_e32 v8, vcc_lo, 0, v8, vcc_lo
	v_cmp_gt_i32_e32 vcc_lo, 31, v9
	v_cndmask_b32_e32 v10, 0x7c00, v10, vcc_lo
	v_cmp_gt_i32_e32 vcc_lo, 31, v11
	v_cndmask_b32_e32 v8, 0x7c00, v8, vcc_lo
	v_cmp_eq_u32_e32 vcc_lo, 0x40f, v9
	v_cndmask_b32_e32 v0, v10, v0, vcc_lo
	v_cmp_eq_u32_e32 vcc_lo, 0x40f, v11
	v_and_or_b32 v0, 0x8000, v1, v0
	v_cndmask_b32_e32 v6, v8, v6, vcc_lo
	v_and_or_b32 v6, 0x8000, v7, v6
	v_and_b32_e32 v7, 0xffff, v0
	v_add_co_u32 v0, vcc_lo, v4, s4
	v_add_co_ci_u32_e32 v1, vcc_lo, s3, v5, vcc_lo
	v_add_co_u32 v2, vcc_lo, 0x1000, v2
	v_lshl_or_b32 v4, v6, 16, v7
	v_add_co_ci_u32_e32 v3, vcc_lo, 0, v3, vcc_lo
	global_store_dword v[0:1], v4, off
	global_load_dword v6, v[2:3], off offset:104
	v_add_nc_u32_e32 v4, 0x1000, v44
	ds_read2_b32 v[4:5], v4 offset0:26 offset1:96
	s_waitcnt lgkmcnt(0)
	v_lshrrev_b32_e32 v7, 16, v4
	s_waitcnt vmcnt(0)
	v_mul_f16_sdwa v8, v7, v6 dst_sel:DWORD dst_unused:UNUSED_PAD src0_sel:DWORD src1_sel:WORD_1
	v_mul_f16_sdwa v9, v4, v6 dst_sel:DWORD dst_unused:UNUSED_PAD src0_sel:DWORD src1_sel:WORD_1
	v_fmac_f16_e32 v8, v4, v6
	v_fma_f16 v4, v6, v7, -v9
	v_cvt_f32_f16_e32 v6, v8
	v_cvt_f32_f16_e32 v4, v4
	v_cvt_f64_f32_e32 v[6:7], v6
	v_cvt_f64_f32_e32 v[8:9], v4
	v_mul_f64 v[6:7], v[6:7], s[12:13]
	v_mul_f64 v[8:9], v[8:9], s[12:13]
	v_and_or_b32 v4, 0x1ff, v7, v6
	v_and_or_b32 v8, 0x1ff, v9, v8
	v_lshrrev_b32_e32 v6, 8, v7
	v_bfe_u32 v10, v7, 20, 11
	v_lshrrev_b32_e32 v11, 8, v9
	v_cmp_ne_u32_e32 vcc_lo, 0, v4
	v_bfe_u32 v12, v9, 20, 11
	v_lshrrev_b32_e32 v7, 16, v7
	v_sub_nc_u32_e32 v13, 0x3f1, v10
	v_add_nc_u32_e32 v10, 0xfffffc10, v10
	v_cndmask_b32_e64 v4, 0, 1, vcc_lo
	v_cmp_ne_u32_e32 vcc_lo, 0, v8
	v_lshrrev_b32_e32 v9, 16, v9
	v_and_or_b32 v4, 0xffe, v6, v4
	v_cndmask_b32_e64 v8, 0, 1, vcc_lo
	v_sub_nc_u32_e32 v6, 0x3f1, v12
	v_add_nc_u32_e32 v12, 0xfffffc10, v12
	v_and_or_b32 v8, 0xffe, v11, v8
	v_med3_i32 v11, v13, 0, 13
	v_or_b32_e32 v13, 0x1000, v4
	v_med3_i32 v6, v6, 0, 13
	v_or_b32_e32 v14, 0x1000, v8
	v_lshrrev_b32_e32 v15, v11, v13
	v_lshrrev_b32_e32 v16, v6, v14
	v_lshlrev_b32_e32 v11, v11, v15
	v_lshlrev_b32_e32 v6, v6, v16
	v_cmp_ne_u32_e32 vcc_lo, v11, v13
	v_lshl_or_b32 v13, v10, 12, v4
	v_cndmask_b32_e64 v11, 0, 1, vcc_lo
	v_cmp_ne_u32_e32 vcc_lo, v6, v14
	v_lshl_or_b32 v14, v12, 12, v8
	v_or_b32_e32 v11, v15, v11
	v_cndmask_b32_e64 v6, 0, 1, vcc_lo
	v_cmp_gt_i32_e32 vcc_lo, 1, v10
	v_or_b32_e32 v6, v16, v6
	v_cndmask_b32_e32 v11, v13, v11, vcc_lo
	v_cmp_gt_i32_e32 vcc_lo, 1, v12
	v_and_b32_e32 v13, 7, v11
	v_cndmask_b32_e32 v6, v14, v6, vcc_lo
	v_cmp_ne_u32_e32 vcc_lo, 0, v4
	v_lshrrev_b32_e32 v11, 2, v11
	v_cmp_eq_u32_e64 s0, 3, v13
	v_and_b32_e32 v14, 7, v6
	v_cndmask_b32_e64 v4, 0, 1, vcc_lo
	v_cmp_ne_u32_e32 vcc_lo, 0, v8
	v_lshrrev_b32_e32 v6, 2, v6
	v_cmp_lt_i32_e64 s1, 5, v14
	v_cmp_eq_u32_e64 s2, 3, v14
	v_cndmask_b32_e64 v8, 0, 1, vcc_lo
	v_cmp_lt_i32_e32 vcc_lo, 5, v13
	v_lshl_or_b32 v4, v4, 9, 0x7c00
	v_lshl_or_b32 v8, v8, 9, 0x7c00
	s_or_b32 vcc_lo, s0, vcc_lo
	v_add_co_ci_u32_e32 v11, vcc_lo, 0, v11, vcc_lo
	s_or_b32 vcc_lo, s2, s1
	v_add_co_ci_u32_e32 v6, vcc_lo, 0, v6, vcc_lo
	v_cmp_gt_i32_e32 vcc_lo, 31, v10
	v_cndmask_b32_e32 v11, 0x7c00, v11, vcc_lo
	v_cmp_gt_i32_e32 vcc_lo, 31, v12
	v_cndmask_b32_e32 v6, 0x7c00, v6, vcc_lo
	v_cmp_eq_u32_e32 vcc_lo, 0x40f, v10
	v_cndmask_b32_e32 v4, v11, v4, vcc_lo
	v_cmp_eq_u32_e32 vcc_lo, 0x40f, v12
	v_and_or_b32 v4, 0x8000, v7, v4
	v_cndmask_b32_e32 v6, v6, v8, vcc_lo
	v_add_co_u32 v0, vcc_lo, v0, s4
	v_add_co_ci_u32_e32 v1, vcc_lo, s3, v1, vcc_lo
	v_and_or_b32 v6, 0x8000, v9, v6
	v_and_b32_e32 v4, 0xffff, v4
	v_lshl_or_b32 v4, v6, 16, v4
	global_store_dword v[0:1], v4, off
	global_load_dword v2, v[2:3], off offset:384
	v_lshrrev_b32_e32 v3, 16, v5
	s_waitcnt vmcnt(0)
	v_mul_f16_sdwa v4, v3, v2 dst_sel:DWORD dst_unused:UNUSED_PAD src0_sel:DWORD src1_sel:WORD_1
	v_mul_f16_sdwa v6, v5, v2 dst_sel:DWORD dst_unused:UNUSED_PAD src0_sel:DWORD src1_sel:WORD_1
	v_fmac_f16_e32 v4, v5, v2
	v_fma_f16 v2, v2, v3, -v6
	v_cvt_f32_f16_e32 v3, v4
	v_cvt_f32_f16_e32 v4, v2
	v_cvt_f64_f32_e32 v[2:3], v3
	v_cvt_f64_f32_e32 v[4:5], v4
	v_mul_f64 v[2:3], v[2:3], s[12:13]
	v_mul_f64 v[4:5], v[4:5], s[12:13]
	v_and_or_b32 v2, 0x1ff, v3, v2
	v_and_or_b32 v4, 0x1ff, v5, v4
	v_lshrrev_b32_e32 v6, 8, v3
	v_bfe_u32 v7, v3, 20, 11
	v_lshrrev_b32_e32 v8, 8, v5
	v_cmp_ne_u32_e32 vcc_lo, 0, v2
	v_bfe_u32 v9, v5, 20, 11
	v_lshrrev_b32_e32 v3, 16, v3
	v_sub_nc_u32_e32 v10, 0x3f1, v7
	v_add_nc_u32_e32 v7, 0xfffffc10, v7
	v_cndmask_b32_e64 v2, 0, 1, vcc_lo
	v_cmp_ne_u32_e32 vcc_lo, 0, v4
	v_lshrrev_b32_e32 v5, 16, v5
	v_and_or_b32 v2, 0xffe, v6, v2
	v_cndmask_b32_e64 v4, 0, 1, vcc_lo
	v_sub_nc_u32_e32 v6, 0x3f1, v9
	v_add_nc_u32_e32 v9, 0xfffffc10, v9
	v_and_or_b32 v4, 0xffe, v8, v4
	v_med3_i32 v8, v10, 0, 13
	v_or_b32_e32 v10, 0x1000, v2
	v_med3_i32 v6, v6, 0, 13
	v_or_b32_e32 v11, 0x1000, v4
	v_lshrrev_b32_e32 v12, v8, v10
	v_lshrrev_b32_e32 v13, v6, v11
	v_lshlrev_b32_e32 v8, v8, v12
	v_lshlrev_b32_e32 v6, v6, v13
	v_cmp_ne_u32_e32 vcc_lo, v8, v10
	v_lshl_or_b32 v10, v7, 12, v2
	v_cndmask_b32_e64 v8, 0, 1, vcc_lo
	v_cmp_ne_u32_e32 vcc_lo, v6, v11
	v_lshl_or_b32 v11, v9, 12, v4
	v_or_b32_e32 v8, v12, v8
	v_cndmask_b32_e64 v6, 0, 1, vcc_lo
	v_cmp_gt_i32_e32 vcc_lo, 1, v7
	v_or_b32_e32 v6, v13, v6
	v_cndmask_b32_e32 v8, v10, v8, vcc_lo
	v_cmp_gt_i32_e32 vcc_lo, 1, v9
	v_and_b32_e32 v10, 7, v8
	v_cndmask_b32_e32 v6, v11, v6, vcc_lo
	v_cmp_ne_u32_e32 vcc_lo, 0, v2
	v_lshrrev_b32_e32 v8, 2, v8
	v_cmp_eq_u32_e64 s0, 3, v10
	v_and_b32_e32 v11, 7, v6
	v_cndmask_b32_e64 v2, 0, 1, vcc_lo
	v_cmp_ne_u32_e32 vcc_lo, 0, v4
	v_lshrrev_b32_e32 v6, 2, v6
	v_cmp_lt_i32_e64 s1, 5, v11
	v_cmp_eq_u32_e64 s2, 3, v11
	v_cndmask_b32_e64 v4, 0, 1, vcc_lo
	v_cmp_lt_i32_e32 vcc_lo, 5, v10
	v_lshl_or_b32 v2, v2, 9, 0x7c00
	v_lshl_or_b32 v4, v4, 9, 0x7c00
	s_or_b32 vcc_lo, s0, vcc_lo
	v_add_co_ci_u32_e32 v8, vcc_lo, 0, v8, vcc_lo
	s_or_b32 vcc_lo, s2, s1
	v_add_co_ci_u32_e32 v6, vcc_lo, 0, v6, vcc_lo
	v_cmp_gt_i32_e32 vcc_lo, 31, v7
	v_cndmask_b32_e32 v8, 0x7c00, v8, vcc_lo
	v_cmp_gt_i32_e32 vcc_lo, 31, v9
	v_cndmask_b32_e32 v6, 0x7c00, v6, vcc_lo
	v_cmp_eq_u32_e32 vcc_lo, 0x40f, v7
	v_cndmask_b32_e32 v2, v8, v2, vcc_lo
	v_cmp_eq_u32_e32 vcc_lo, 0x40f, v9
	v_and_or_b32 v2, 0x8000, v3, v2
	v_cndmask_b32_e32 v4, v6, v4, vcc_lo
	v_add_co_u32 v0, vcc_lo, v0, s4
	v_add_co_ci_u32_e32 v1, vcc_lo, s3, v1, vcc_lo
	v_and_or_b32 v3, 0x8000, v5, v4
	v_and_b32_e32 v2, 0xffff, v2
	v_lshl_or_b32 v2, v3, 16, v2
	global_store_dword v[0:1], v2, off
.LBB0_23:
	s_endpgm
	.section	.rodata,"a",@progbits
	.p2align	6, 0x0
	.amdhsa_kernel bluestein_single_back_len1190_dim1_half_op_CI_CI
		.amdhsa_group_segment_fixed_size 14280
		.amdhsa_private_segment_fixed_size 0
		.amdhsa_kernarg_size 104
		.amdhsa_user_sgpr_count 6
		.amdhsa_user_sgpr_private_segment_buffer 1
		.amdhsa_user_sgpr_dispatch_ptr 0
		.amdhsa_user_sgpr_queue_ptr 0
		.amdhsa_user_sgpr_kernarg_segment_ptr 1
		.amdhsa_user_sgpr_dispatch_id 0
		.amdhsa_user_sgpr_flat_scratch_init 0
		.amdhsa_user_sgpr_private_segment_size 0
		.amdhsa_wavefront_size32 1
		.amdhsa_uses_dynamic_stack 0
		.amdhsa_system_sgpr_private_segment_wavefront_offset 0
		.amdhsa_system_sgpr_workgroup_id_x 1
		.amdhsa_system_sgpr_workgroup_id_y 0
		.amdhsa_system_sgpr_workgroup_id_z 0
		.amdhsa_system_sgpr_workgroup_info 0
		.amdhsa_system_vgpr_workitem_id 0
		.amdhsa_next_free_vgpr 229
		.amdhsa_next_free_sgpr 16
		.amdhsa_reserve_vcc 1
		.amdhsa_reserve_flat_scratch 0
		.amdhsa_float_round_mode_32 0
		.amdhsa_float_round_mode_16_64 0
		.amdhsa_float_denorm_mode_32 3
		.amdhsa_float_denorm_mode_16_64 3
		.amdhsa_dx10_clamp 1
		.amdhsa_ieee_mode 1
		.amdhsa_fp16_overflow 0
		.amdhsa_workgroup_processor_mode 1
		.amdhsa_memory_ordered 1
		.amdhsa_forward_progress 0
		.amdhsa_shared_vgpr_count 0
		.amdhsa_exception_fp_ieee_invalid_op 0
		.amdhsa_exception_fp_denorm_src 0
		.amdhsa_exception_fp_ieee_div_zero 0
		.amdhsa_exception_fp_ieee_overflow 0
		.amdhsa_exception_fp_ieee_underflow 0
		.amdhsa_exception_fp_ieee_inexact 0
		.amdhsa_exception_int_div_zero 0
	.end_amdhsa_kernel
	.text
.Lfunc_end0:
	.size	bluestein_single_back_len1190_dim1_half_op_CI_CI, .Lfunc_end0-bluestein_single_back_len1190_dim1_half_op_CI_CI
                                        ; -- End function
	.section	.AMDGPU.csdata,"",@progbits
; Kernel info:
; codeLenInByte = 32456
; NumSgprs: 18
; NumVgprs: 229
; ScratchSize: 0
; MemoryBound: 0
; FloatMode: 240
; IeeeMode: 1
; LDSByteSize: 14280 bytes/workgroup (compile time only)
; SGPRBlocks: 2
; VGPRBlocks: 28
; NumSGPRsForWavesPerEU: 18
; NumVGPRsForWavesPerEU: 229
; Occupancy: 4
; WaveLimiterHint : 1
; COMPUTE_PGM_RSRC2:SCRATCH_EN: 0
; COMPUTE_PGM_RSRC2:USER_SGPR: 6
; COMPUTE_PGM_RSRC2:TRAP_HANDLER: 0
; COMPUTE_PGM_RSRC2:TGID_X_EN: 1
; COMPUTE_PGM_RSRC2:TGID_Y_EN: 0
; COMPUTE_PGM_RSRC2:TGID_Z_EN: 0
; COMPUTE_PGM_RSRC2:TIDIG_COMP_CNT: 0
	.text
	.p2alignl 6, 3214868480
	.fill 48, 4, 3214868480
	.type	__hip_cuid_ea3fa89ca179aa74,@object ; @__hip_cuid_ea3fa89ca179aa74
	.section	.bss,"aw",@nobits
	.globl	__hip_cuid_ea3fa89ca179aa74
__hip_cuid_ea3fa89ca179aa74:
	.byte	0                               ; 0x0
	.size	__hip_cuid_ea3fa89ca179aa74, 1

	.ident	"AMD clang version 19.0.0git (https://github.com/RadeonOpenCompute/llvm-project roc-6.4.0 25133 c7fe45cf4b819c5991fe208aaa96edf142730f1d)"
	.section	".note.GNU-stack","",@progbits
	.addrsig
	.addrsig_sym __hip_cuid_ea3fa89ca179aa74
	.amdgpu_metadata
---
amdhsa.kernels:
  - .args:
      - .actual_access:  read_only
        .address_space:  global
        .offset:         0
        .size:           8
        .value_kind:     global_buffer
      - .actual_access:  read_only
        .address_space:  global
        .offset:         8
        .size:           8
        .value_kind:     global_buffer
      - .actual_access:  read_only
        .address_space:  global
        .offset:         16
        .size:           8
        .value_kind:     global_buffer
      - .actual_access:  read_only
        .address_space:  global
        .offset:         24
        .size:           8
        .value_kind:     global_buffer
      - .actual_access:  read_only
        .address_space:  global
        .offset:         32
        .size:           8
        .value_kind:     global_buffer
      - .offset:         40
        .size:           8
        .value_kind:     by_value
      - .address_space:  global
        .offset:         48
        .size:           8
        .value_kind:     global_buffer
      - .address_space:  global
        .offset:         56
        .size:           8
        .value_kind:     global_buffer
      - .address_space:  global
        .offset:         64
        .size:           8
        .value_kind:     global_buffer
      - .address_space:  global
        .offset:         72
        .size:           8
        .value_kind:     global_buffer
      - .offset:         80
        .size:           4
        .value_kind:     by_value
      - .address_space:  global
        .offset:         88
        .size:           8
        .value_kind:     global_buffer
      - .address_space:  global
        .offset:         96
        .size:           8
        .value_kind:     global_buffer
    .group_segment_fixed_size: 14280
    .kernarg_segment_align: 8
    .kernarg_segment_size: 104
    .language:       OpenCL C
    .language_version:
      - 2
      - 0
    .max_flat_workgroup_size: 255
    .name:           bluestein_single_back_len1190_dim1_half_op_CI_CI
    .private_segment_fixed_size: 0
    .sgpr_count:     18
    .sgpr_spill_count: 0
    .symbol:         bluestein_single_back_len1190_dim1_half_op_CI_CI.kd
    .uniform_work_group_size: 1
    .uses_dynamic_stack: false
    .vgpr_count:     229
    .vgpr_spill_count: 0
    .wavefront_size: 32
    .workgroup_processor_mode: 1
amdhsa.target:   amdgcn-amd-amdhsa--gfx1030
amdhsa.version:
  - 1
  - 2
...

	.end_amdgpu_metadata
